;; amdgpu-corpus repo=pytorch/pytorch kind=compiled arch=gfx1100 opt=O3
	.text
	.amdgcn_target "amdgcn-amd-amdhsa--gfx1100"
	.amdhsa_code_object_version 6
	.section	.text._ZN2at6native12_GLOBAL__N_131replication_pad_backward_kernelIdEEvN5torch10headeronly6detail27GenericPackedTensorAccessorINS5_14TensorAccessorIN3c108ArrayRefIlEET_Lm3ENS4_16DefaultPtrTraitsElEENS_6detail16IndexBoundsCheckILm4ElEESB_Lm4ESC_lEENS6_INS7_ISA_KSB_Lm3ESC_lEESG_SI_Lm4ESC_lEEiiii,"axG",@progbits,_ZN2at6native12_GLOBAL__N_131replication_pad_backward_kernelIdEEvN5torch10headeronly6detail27GenericPackedTensorAccessorINS5_14TensorAccessorIN3c108ArrayRefIlEET_Lm3ENS4_16DefaultPtrTraitsElEENS_6detail16IndexBoundsCheckILm4ElEESB_Lm4ESC_lEENS6_INS7_ISA_KSB_Lm3ESC_lEESG_SI_Lm4ESC_lEEiiii,comdat
	.globl	_ZN2at6native12_GLOBAL__N_131replication_pad_backward_kernelIdEEvN5torch10headeronly6detail27GenericPackedTensorAccessorINS5_14TensorAccessorIN3c108ArrayRefIlEET_Lm3ENS4_16DefaultPtrTraitsElEENS_6detail16IndexBoundsCheckILm4ElEESB_Lm4ESC_lEENS6_INS7_ISA_KSB_Lm3ESC_lEESG_SI_Lm4ESC_lEEiiii ; -- Begin function _ZN2at6native12_GLOBAL__N_131replication_pad_backward_kernelIdEEvN5torch10headeronly6detail27GenericPackedTensorAccessorINS5_14TensorAccessorIN3c108ArrayRefIlEET_Lm3ENS4_16DefaultPtrTraitsElEENS_6detail16IndexBoundsCheckILm4ElEESB_Lm4ESC_lEENS6_INS7_ISA_KSB_Lm3ESC_lEESG_SI_Lm4ESC_lEEiiii
	.p2align	8
	.type	_ZN2at6native12_GLOBAL__N_131replication_pad_backward_kernelIdEEvN5torch10headeronly6detail27GenericPackedTensorAccessorINS5_14TensorAccessorIN3c108ArrayRefIlEET_Lm3ENS4_16DefaultPtrTraitsElEENS_6detail16IndexBoundsCheckILm4ElEESB_Lm4ESC_lEENS6_INS7_ISA_KSB_Lm3ESC_lEESG_SI_Lm4ESC_lEEiiii,@function
_ZN2at6native12_GLOBAL__N_131replication_pad_backward_kernelIdEEvN5torch10headeronly6detail27GenericPackedTensorAccessorINS5_14TensorAccessorIN3c108ArrayRefIlEET_Lm3ENS4_16DefaultPtrTraitsElEENS_6detail16IndexBoundsCheckILm4ElEESB_Lm4ESC_lEENS6_INS7_ISA_KSB_Lm3ESC_lEESG_SI_Lm4ESC_lEEiiii: ; @_ZN2at6native12_GLOBAL__N_131replication_pad_backward_kernelIdEEvN5torch10headeronly6detail27GenericPackedTensorAccessorINS5_14TensorAccessorIN3c108ArrayRefIlEET_Lm3ENS4_16DefaultPtrTraitsElEENS_6detail16IndexBoundsCheckILm4ElEESB_Lm4ESC_lEENS6_INS7_ISA_KSB_Lm3ESC_lEESG_SI_Lm4ESC_lEEiiii
; %bb.0:
	s_clause 0x1
	s_load_b32 s2, s[0:1], 0xac
	s_load_b128 s[4:7], s[0:1], 0x60
	s_waitcnt lgkmcnt(0)
	s_and_b32 s2, s2, 0xffff
	s_mul_hi_u32 s3, s6, s4
	v_mad_u64_u32 v[1:2], null, s13, s2, v[0:1]
	s_mul_i32 s2, s6, s5
	s_delay_alu instid0(SALU_CYCLE_1) | instskip(SKIP_1) | instid1(SALU_CYCLE_1)
	s_add_i32 s2, s3, s2
	s_mul_i32 s3, s7, s4
	s_add_i32 s3, s2, s3
	s_delay_alu instid0(VALU_DEP_1)
	v_ashrrev_i32_e32 v2, 31, v1
	s_mul_i32 s2, s6, s4
	s_delay_alu instid0(VALU_DEP_1) | instid1(SALU_CYCLE_1)
	v_cmp_gt_i64_e32 vcc_lo, s[2:3], v[1:2]
	s_and_saveexec_b32 s2, vcc_lo
	s_cbranch_execz .LBB0_7
; %bb.1:
	v_or_b32_e32 v4, s7, v2
	v_mov_b32_e32 v3, 0
	s_delay_alu instid0(VALU_DEP_1) | instskip(SKIP_1) | instid1(SALU_CYCLE_1)
	v_cmp_ne_u64_e32 vcc_lo, 0, v[3:4]
                                        ; implicit-def: $vgpr3_vgpr4
	s_and_saveexec_b32 s2, vcc_lo
	s_xor_b32 s3, exec_lo, s2
	s_cbranch_execz .LBB0_3
; %bb.2:
	s_ashr_i32 s4, s7, 31
	s_delay_alu instid0(SALU_CYCLE_1) | instskip(SKIP_2) | instid1(SALU_CYCLE_1)
	s_add_u32 s8, s6, s4
	s_mov_b32 s5, s4
	s_addc_u32 s9, s7, s4
	s_xor_b64 s[8:9], s[8:9], s[4:5]
	s_delay_alu instid0(SALU_CYCLE_1) | instskip(SKIP_3) | instid1(VALU_DEP_1)
	v_cvt_f32_u32_e32 v0, s8
	v_cvt_f32_u32_e32 v3, s9
	s_sub_u32 s2, 0, s8
	s_subb_u32 s5, 0, s9
	v_fmamk_f32 v0, v3, 0x4f800000, v0
	s_delay_alu instid0(VALU_DEP_1) | instskip(SKIP_2) | instid1(VALU_DEP_1)
	v_rcp_f32_e32 v0, v0
	s_waitcnt_depctr 0xfff
	v_mul_f32_e32 v0, 0x5f7ffffc, v0
	v_mul_f32_e32 v3, 0x2f800000, v0
	s_delay_alu instid0(VALU_DEP_1) | instskip(NEXT) | instid1(VALU_DEP_1)
	v_trunc_f32_e32 v3, v3
	v_fmamk_f32 v0, v3, 0xcf800000, v0
	v_cvt_u32_f32_e32 v3, v3
	s_delay_alu instid0(VALU_DEP_2) | instskip(NEXT) | instid1(VALU_DEP_2)
	v_cvt_u32_f32_e32 v0, v0
	v_mul_lo_u32 v4, s2, v3
	s_delay_alu instid0(VALU_DEP_2) | instskip(SKIP_1) | instid1(VALU_DEP_2)
	v_mul_hi_u32 v5, s2, v0
	v_mul_lo_u32 v6, s5, v0
	v_add_nc_u32_e32 v4, v5, v4
	v_mul_lo_u32 v5, s2, v0
	s_delay_alu instid0(VALU_DEP_2) | instskip(NEXT) | instid1(VALU_DEP_2)
	v_add_nc_u32_e32 v4, v4, v6
	v_mul_hi_u32 v6, v0, v5
	s_delay_alu instid0(VALU_DEP_2)
	v_mul_lo_u32 v7, v0, v4
	v_mul_hi_u32 v8, v0, v4
	v_mul_hi_u32 v9, v3, v5
	v_mul_lo_u32 v5, v3, v5
	v_mul_hi_u32 v10, v3, v4
	v_mul_lo_u32 v4, v3, v4
	v_add_co_u32 v6, vcc_lo, v6, v7
	v_add_co_ci_u32_e32 v7, vcc_lo, 0, v8, vcc_lo
	s_delay_alu instid0(VALU_DEP_2) | instskip(NEXT) | instid1(VALU_DEP_2)
	v_add_co_u32 v5, vcc_lo, v6, v5
	v_add_co_ci_u32_e32 v5, vcc_lo, v7, v9, vcc_lo
	v_add_co_ci_u32_e32 v6, vcc_lo, 0, v10, vcc_lo
	v_ashrrev_i32_e32 v9, 31, v2
	s_delay_alu instid0(VALU_DEP_3) | instskip(NEXT) | instid1(VALU_DEP_3)
	v_add_co_u32 v4, vcc_lo, v5, v4
	v_add_co_ci_u32_e32 v5, vcc_lo, 0, v6, vcc_lo
	s_delay_alu instid0(VALU_DEP_2) | instskip(NEXT) | instid1(VALU_DEP_2)
	v_add_co_u32 v0, vcc_lo, v0, v4
	v_add_co_ci_u32_e32 v3, vcc_lo, v3, v5, vcc_lo
	s_delay_alu instid0(VALU_DEP_2) | instskip(SKIP_1) | instid1(VALU_DEP_3)
	v_mul_hi_u32 v4, s2, v0
	v_mul_lo_u32 v6, s5, v0
	v_mul_lo_u32 v5, s2, v3
	s_delay_alu instid0(VALU_DEP_1) | instskip(SKIP_1) | instid1(VALU_DEP_2)
	v_add_nc_u32_e32 v4, v4, v5
	v_mul_lo_u32 v5, s2, v0
	v_add_nc_u32_e32 v4, v4, v6
	s_delay_alu instid0(VALU_DEP_2) | instskip(NEXT) | instid1(VALU_DEP_2)
	v_mul_hi_u32 v6, v0, v5
	v_mul_lo_u32 v7, v0, v4
	v_mul_hi_u32 v8, v0, v4
	v_mul_hi_u32 v10, v3, v5
	v_mul_lo_u32 v5, v3, v5
	v_mul_hi_u32 v11, v3, v4
	v_mul_lo_u32 v4, v3, v4
	v_add_co_u32 v6, vcc_lo, v6, v7
	v_add_co_ci_u32_e32 v7, vcc_lo, 0, v8, vcc_lo
	s_delay_alu instid0(VALU_DEP_2) | instskip(NEXT) | instid1(VALU_DEP_2)
	v_add_co_u32 v5, vcc_lo, v6, v5
	v_add_co_ci_u32_e32 v5, vcc_lo, v7, v10, vcc_lo
	v_add_co_ci_u32_e32 v6, vcc_lo, 0, v11, vcc_lo
	v_add_co_u32 v7, vcc_lo, v1, v9
	v_add_co_ci_u32_e32 v8, vcc_lo, v2, v9, vcc_lo
	s_delay_alu instid0(VALU_DEP_4) | instskip(NEXT) | instid1(VALU_DEP_4)
	v_add_co_u32 v4, vcc_lo, v5, v4
	v_add_co_ci_u32_e32 v5, vcc_lo, 0, v6, vcc_lo
	s_delay_alu instid0(VALU_DEP_4) | instskip(NEXT) | instid1(VALU_DEP_3)
	v_xor_b32_e32 v10, v7, v9
	v_add_co_u32 v0, vcc_lo, v0, v4
	s_delay_alu instid0(VALU_DEP_3) | instskip(SKIP_1) | instid1(VALU_DEP_3)
	v_add_co_ci_u32_e32 v11, vcc_lo, v3, v5, vcc_lo
	v_xor_b32_e32 v12, v8, v9
	v_mul_hi_u32 v13, v10, v0
	s_delay_alu instid0(VALU_DEP_3) | instskip(NEXT) | instid1(VALU_DEP_3)
	v_mad_u64_u32 v[3:4], null, v10, v11, 0
	v_mad_u64_u32 v[5:6], null, v12, v0, 0
	;; [unrolled: 1-line block ×3, first 2 shown]
	s_delay_alu instid0(VALU_DEP_3) | instskip(NEXT) | instid1(VALU_DEP_4)
	v_add_co_u32 v0, vcc_lo, v13, v3
	v_add_co_ci_u32_e32 v3, vcc_lo, 0, v4, vcc_lo
	s_delay_alu instid0(VALU_DEP_2) | instskip(NEXT) | instid1(VALU_DEP_2)
	v_add_co_u32 v0, vcc_lo, v0, v5
	v_add_co_ci_u32_e32 v0, vcc_lo, v3, v6, vcc_lo
	v_add_co_ci_u32_e32 v3, vcc_lo, 0, v8, vcc_lo
	s_delay_alu instid0(VALU_DEP_2) | instskip(NEXT) | instid1(VALU_DEP_2)
	v_add_co_u32 v0, vcc_lo, v0, v7
	v_add_co_ci_u32_e32 v5, vcc_lo, 0, v3, vcc_lo
	s_delay_alu instid0(VALU_DEP_2) | instskip(SKIP_1) | instid1(VALU_DEP_3)
	v_mul_lo_u32 v6, s9, v0
	v_mad_u64_u32 v[3:4], null, s8, v0, 0
	v_mul_lo_u32 v7, s8, v5
	s_delay_alu instid0(VALU_DEP_2) | instskip(NEXT) | instid1(VALU_DEP_2)
	v_sub_co_u32 v3, vcc_lo, v10, v3
	v_add3_u32 v4, v4, v7, v6
	s_delay_alu instid0(VALU_DEP_1) | instskip(NEXT) | instid1(VALU_DEP_1)
	v_sub_nc_u32_e32 v6, v12, v4
	v_subrev_co_ci_u32_e64 v6, s2, s9, v6, vcc_lo
	v_add_co_u32 v7, s2, v0, 2
	s_delay_alu instid0(VALU_DEP_1) | instskip(SKIP_3) | instid1(VALU_DEP_3)
	v_add_co_ci_u32_e64 v8, s2, 0, v5, s2
	v_sub_co_u32 v10, s2, v3, s8
	v_sub_co_ci_u32_e32 v4, vcc_lo, v12, v4, vcc_lo
	v_subrev_co_ci_u32_e64 v6, s2, 0, v6, s2
	v_cmp_le_u32_e32 vcc_lo, s8, v10
	s_delay_alu instid0(VALU_DEP_3) | instskip(SKIP_1) | instid1(VALU_DEP_4)
	v_cmp_eq_u32_e64 s2, s9, v4
	v_cndmask_b32_e64 v10, 0, -1, vcc_lo
	v_cmp_le_u32_e32 vcc_lo, s9, v6
	v_cndmask_b32_e64 v11, 0, -1, vcc_lo
	v_cmp_le_u32_e32 vcc_lo, s8, v3
	;; [unrolled: 2-line block ×3, first 2 shown]
	v_cndmask_b32_e64 v12, 0, -1, vcc_lo
	v_cmp_eq_u32_e32 vcc_lo, s9, v6
	s_delay_alu instid0(VALU_DEP_2) | instskip(SKIP_3) | instid1(VALU_DEP_3)
	v_cndmask_b32_e64 v3, v12, v3, s2
	v_cndmask_b32_e32 v6, v11, v10, vcc_lo
	v_add_co_u32 v10, vcc_lo, v0, 1
	v_add_co_ci_u32_e32 v11, vcc_lo, 0, v5, vcc_lo
	v_cmp_ne_u32_e32 vcc_lo, 0, v6
	s_delay_alu instid0(VALU_DEP_2) | instskip(NEXT) | instid1(VALU_DEP_4)
	v_cndmask_b32_e32 v4, v11, v8, vcc_lo
	v_cndmask_b32_e32 v6, v10, v7, vcc_lo
	v_cmp_ne_u32_e32 vcc_lo, 0, v3
	v_xor_b32_e32 v7, s4, v9
	s_delay_alu instid0(VALU_DEP_3) | instskip(NEXT) | instid1(VALU_DEP_1)
	v_dual_cndmask_b32 v0, v0, v6 :: v_dual_cndmask_b32 v3, v5, v4
	v_xor_b32_e32 v0, v0, v7
	s_delay_alu instid0(VALU_DEP_2) | instskip(NEXT) | instid1(VALU_DEP_2)
	v_xor_b32_e32 v4, v3, v7
	v_sub_co_u32 v3, vcc_lo, v0, v7
	s_delay_alu instid0(VALU_DEP_2)
	v_sub_co_ci_u32_e32 v4, vcc_lo, v4, v7, vcc_lo
.LBB0_3:
	s_and_not1_saveexec_b32 s2, s3
	s_cbranch_execz .LBB0_5
; %bb.4:
	v_cvt_f32_u32_e32 v0, s6
	s_sub_i32 s3, 0, s6
	s_delay_alu instid0(VALU_DEP_1) | instskip(SKIP_2) | instid1(VALU_DEP_1)
	v_rcp_iflag_f32_e32 v0, v0
	s_waitcnt_depctr 0xfff
	v_mul_f32_e32 v0, 0x4f7ffffe, v0
	v_cvt_u32_f32_e32 v0, v0
	s_delay_alu instid0(VALU_DEP_1) | instskip(NEXT) | instid1(VALU_DEP_1)
	v_mul_lo_u32 v3, s3, v0
	v_mul_hi_u32 v3, v0, v3
	s_delay_alu instid0(VALU_DEP_1) | instskip(NEXT) | instid1(VALU_DEP_1)
	v_add_nc_u32_e32 v0, v0, v3
	v_mul_hi_u32 v0, v1, v0
	s_delay_alu instid0(VALU_DEP_1) | instskip(SKIP_1) | instid1(VALU_DEP_2)
	v_mul_lo_u32 v3, v0, s6
	v_add_nc_u32_e32 v4, 1, v0
	v_sub_nc_u32_e32 v3, v1, v3
	s_delay_alu instid0(VALU_DEP_1) | instskip(SKIP_1) | instid1(VALU_DEP_2)
	v_subrev_nc_u32_e32 v5, s6, v3
	v_cmp_le_u32_e32 vcc_lo, s6, v3
	v_dual_cndmask_b32 v3, v3, v5 :: v_dual_cndmask_b32 v0, v0, v4
	s_delay_alu instid0(VALU_DEP_1) | instskip(NEXT) | instid1(VALU_DEP_2)
	v_cmp_le_u32_e32 vcc_lo, s6, v3
	v_add_nc_u32_e32 v4, 1, v0
	s_delay_alu instid0(VALU_DEP_1)
	v_dual_cndmask_b32 v3, v0, v4 :: v_dual_mov_b32 v4, 0
.LBB0_5:
	s_or_b32 exec_lo, exec_lo, s2
	s_load_b128 s[24:27], s[0:1], 0x90
	s_delay_alu instid0(VALU_DEP_1) | instskip(NEXT) | instid1(VALU_DEP_2)
	v_mul_lo_u32 v0, v4, s6
	v_mul_lo_u32 v6, v3, s7
	v_mad_u64_u32 v[4:5], null, v3, s6, 0
	s_clause 0x2
	s_load_b256 s[4:11], s[0:1], 0x18
	s_load_b256 s[16:23], s[0:1], 0x70
	s_load_b64 s[12:13], s[0:1], 0x0
	s_delay_alu instid0(VALU_DEP_1) | instskip(NEXT) | instid1(VALU_DEP_2)
	v_sub_co_u32 v4, vcc_lo, v1, v4
	v_add3_u32 v0, v5, v6, v0
	s_delay_alu instid0(VALU_DEP_1)
	v_sub_co_ci_u32_e32 v2, vcc_lo, v2, v0, vcc_lo
	s_waitcnt lgkmcnt(0)
	s_add_i32 s7, s15, s27
	s_add_i32 s26, s14, s26
	s_load_b64 s[14:15], s[0:1], 0x48
	s_sub_i32 s2, 0, s25
	s_add_i32 s6, s25, s6
	s_ashr_i32 s30, s7, 31
	s_add_i32 s6, s6, -1
	s_sub_i32 s3, 0, s24
	s_max_i32 s5, s25, 0
	s_max_i32 s28, s2, 0
	v_maxmin_i32 v5, s25, v4, s6
	s_mul_i32 s6, s16, s30
	s_mul_hi_u32 s25, s16, s7
	s_max_i32 s29, s3, 0
	s_load_b128 s[0:3], s[0:1], 0x38
	s_sub_i32 s28, s28, s5
	s_add_i32 s5, s25, s6
	s_mul_i32 s6, s17, s7
	s_add_i32 s17, s24, s4
	s_max_i32 s27, s24, 0
	s_add_i32 s17, s17, -1
	s_add_i32 s5, s5, s6
	v_maxmin_i32 v6, s24, v3, s17
	s_mul_i32 s4, s16, s7
	v_ashrrev_i32_e32 v0, 31, v3
	s_lshl_b64 s[4:5], s[4:5], 3
	s_sub_i32 s6, s29, s27
	s_waitcnt lgkmcnt(0)
	s_add_u32 s14, s14, s4
	v_add_nc_u32_e32 v6, s6, v6
	s_addc_u32 s15, s15, s5
	s_ashr_i32 s16, s26, 31
	v_mul_lo_u32 v7, s21, v3
	v_mul_lo_u32 v8, s20, v0
	v_mad_u64_u32 v[0:1], null, s20, v3, 0
	s_mul_i32 s4, s18, s16
	s_mul_hi_u32 s5, s18, s26
	v_add_nc_u32_e32 v9, s28, v5
	s_add_i32 s4, s5, s4
	s_mul_i32 s5, s19, s26
	v_ashrrev_i32_e32 v5, 31, v6
	s_add_i32 s5, s4, s5
	s_mul_i32 s4, s18, s26
	v_add3_u32 v1, v1, v8, v7
	s_lshl_b64 s[4:5], s[4:5], 3
	v_mul_lo_u32 v7, s23, v4
	v_mul_lo_u32 v8, s22, v2
	v_mad_u64_u32 v[2:3], null, s22, v4, 0
	v_mul_lo_u32 v10, s0, v5
	v_mul_lo_u32 v11, s1, v6
	v_mad_u64_u32 v[4:5], null, s0, v6, 0
	s_add_u32 s6, s14, s4
	s_addc_u32 s14, s15, s5
	s_mul_i32 s4, s8, s30
	s_mul_hi_u32 s5, s8, s7
	v_ashrrev_i32_e32 v6, 31, v9
	s_add_i32 s4, s5, s4
	s_mul_i32 s5, s9, s7
	v_lshlrev_b64 v[0:1], 3, v[0:1]
	s_add_i32 s5, s4, s5
	s_mul_i32 s4, s8, s7
	v_add3_u32 v3, v3, v8, v7
	s_lshl_b64 s[4:5], s[4:5], 3
	v_add3_u32 v5, v5, v10, v11
	v_mul_lo_u32 v8, s2, v6
	v_mul_lo_u32 v10, s3, v9
	v_mad_u64_u32 v[6:7], null, s2, v9, 0
	s_mul_i32 s7, s10, s16
	s_mul_hi_u32 s8, s10, s26
	s_add_u32 s4, s12, s4
	s_addc_u32 s5, s13, s5
	s_add_i32 s0, s8, s7
	s_mul_i32 s1, s11, s26
	v_add_co_u32 v9, vcc_lo, s6, v0
	s_add_i32 s1, s0, s1
	s_mul_i32 s0, s10, s26
	v_add_co_ci_u32_e32 v11, vcc_lo, s14, v1, vcc_lo
	v_lshlrev_b64 v[0:1], 3, v[4:5]
	s_lshl_b64 s[0:1], s[0:1], 3
	v_add3_u32 v7, v7, v8, v10
	s_add_u32 s0, s4, s0
	v_lshlrev_b64 v[2:3], 3, v[2:3]
	s_addc_u32 s1, s5, s1
	v_add_co_u32 v4, vcc_lo, s0, v0
	v_add_co_ci_u32_e32 v5, vcc_lo, s1, v1, vcc_lo
	v_lshlrev_b64 v[0:1], 3, v[6:7]
	s_delay_alu instid0(VALU_DEP_4) | instskip(SKIP_2) | instid1(VALU_DEP_3)
	v_add_co_u32 v2, vcc_lo, v9, v2
	v_add_co_ci_u32_e32 v3, vcc_lo, v11, v3, vcc_lo
	s_mov_b32 s0, 0
	v_add_co_u32 v4, vcc_lo, v4, v0
	s_delay_alu instid0(VALU_DEP_4)
	v_add_co_ci_u32_e32 v5, vcc_lo, v5, v1, vcc_lo
	global_load_b64 v[6:7], v[2:3], off
	global_load_b64 v[2:3], v[4:5], off
.LBB0_6:                                ; =>This Inner Loop Header: Depth=1
	s_waitcnt vmcnt(0)
	v_add_f64 v[0:1], v[2:3], v[6:7]
	global_atomic_cmpswap_b64 v[0:1], v[4:5], v[0:3], off glc
	s_waitcnt vmcnt(0)
	v_cmp_eq_u64_e32 vcc_lo, v[0:1], v[2:3]
	v_dual_mov_b32 v3, v1 :: v_dual_mov_b32 v2, v0
	s_or_b32 s0, vcc_lo, s0
	s_delay_alu instid0(SALU_CYCLE_1)
	s_and_not1_b32 exec_lo, exec_lo, s0
	s_cbranch_execnz .LBB0_6
.LBB0_7:
	s_endpgm
	.section	.rodata,"a",@progbits
	.p2align	6, 0x0
	.amdhsa_kernel _ZN2at6native12_GLOBAL__N_131replication_pad_backward_kernelIdEEvN5torch10headeronly6detail27GenericPackedTensorAccessorINS5_14TensorAccessorIN3c108ArrayRefIlEET_Lm3ENS4_16DefaultPtrTraitsElEENS_6detail16IndexBoundsCheckILm4ElEESB_Lm4ESC_lEENS6_INS7_ISA_KSB_Lm3ESC_lEESG_SI_Lm4ESC_lEEiiii
		.amdhsa_group_segment_fixed_size 0
		.amdhsa_private_segment_fixed_size 0
		.amdhsa_kernarg_size 416
		.amdhsa_user_sgpr_count 13
		.amdhsa_user_sgpr_dispatch_ptr 0
		.amdhsa_user_sgpr_queue_ptr 0
		.amdhsa_user_sgpr_kernarg_segment_ptr 1
		.amdhsa_user_sgpr_dispatch_id 0
		.amdhsa_user_sgpr_private_segment_size 0
		.amdhsa_wavefront_size32 1
		.amdhsa_uses_dynamic_stack 0
		.amdhsa_enable_private_segment 0
		.amdhsa_system_sgpr_workgroup_id_x 1
		.amdhsa_system_sgpr_workgroup_id_y 1
		.amdhsa_system_sgpr_workgroup_id_z 1
		.amdhsa_system_sgpr_workgroup_info 0
		.amdhsa_system_vgpr_workitem_id 0
		.amdhsa_next_free_vgpr 14
		.amdhsa_next_free_sgpr 31
		.amdhsa_reserve_vcc 1
		.amdhsa_float_round_mode_32 0
		.amdhsa_float_round_mode_16_64 0
		.amdhsa_float_denorm_mode_32 3
		.amdhsa_float_denorm_mode_16_64 3
		.amdhsa_dx10_clamp 1
		.amdhsa_ieee_mode 1
		.amdhsa_fp16_overflow 0
		.amdhsa_workgroup_processor_mode 1
		.amdhsa_memory_ordered 1
		.amdhsa_forward_progress 0
		.amdhsa_shared_vgpr_count 0
		.amdhsa_exception_fp_ieee_invalid_op 0
		.amdhsa_exception_fp_denorm_src 0
		.amdhsa_exception_fp_ieee_div_zero 0
		.amdhsa_exception_fp_ieee_overflow 0
		.amdhsa_exception_fp_ieee_underflow 0
		.amdhsa_exception_fp_ieee_inexact 0
		.amdhsa_exception_int_div_zero 0
	.end_amdhsa_kernel
	.section	.text._ZN2at6native12_GLOBAL__N_131replication_pad_backward_kernelIdEEvN5torch10headeronly6detail27GenericPackedTensorAccessorINS5_14TensorAccessorIN3c108ArrayRefIlEET_Lm3ENS4_16DefaultPtrTraitsElEENS_6detail16IndexBoundsCheckILm4ElEESB_Lm4ESC_lEENS6_INS7_ISA_KSB_Lm3ESC_lEESG_SI_Lm4ESC_lEEiiii,"axG",@progbits,_ZN2at6native12_GLOBAL__N_131replication_pad_backward_kernelIdEEvN5torch10headeronly6detail27GenericPackedTensorAccessorINS5_14TensorAccessorIN3c108ArrayRefIlEET_Lm3ENS4_16DefaultPtrTraitsElEENS_6detail16IndexBoundsCheckILm4ElEESB_Lm4ESC_lEENS6_INS7_ISA_KSB_Lm3ESC_lEESG_SI_Lm4ESC_lEEiiii,comdat
.Lfunc_end0:
	.size	_ZN2at6native12_GLOBAL__N_131replication_pad_backward_kernelIdEEvN5torch10headeronly6detail27GenericPackedTensorAccessorINS5_14TensorAccessorIN3c108ArrayRefIlEET_Lm3ENS4_16DefaultPtrTraitsElEENS_6detail16IndexBoundsCheckILm4ElEESB_Lm4ESC_lEENS6_INS7_ISA_KSB_Lm3ESC_lEESG_SI_Lm4ESC_lEEiiii, .Lfunc_end0-_ZN2at6native12_GLOBAL__N_131replication_pad_backward_kernelIdEEvN5torch10headeronly6detail27GenericPackedTensorAccessorINS5_14TensorAccessorIN3c108ArrayRefIlEET_Lm3ENS4_16DefaultPtrTraitsElEENS_6detail16IndexBoundsCheckILm4ElEESB_Lm4ESC_lEENS6_INS7_ISA_KSB_Lm3ESC_lEESG_SI_Lm4ESC_lEEiiii
                                        ; -- End function
	.section	.AMDGPU.csdata,"",@progbits
; Kernel info:
; codeLenInByte = 1744
; NumSgprs: 33
; NumVgprs: 14
; ScratchSize: 0
; MemoryBound: 0
; FloatMode: 240
; IeeeMode: 1
; LDSByteSize: 0 bytes/workgroup (compile time only)
; SGPRBlocks: 4
; VGPRBlocks: 1
; NumSGPRsForWavesPerEU: 33
; NumVGPRsForWavesPerEU: 14
; Occupancy: 16
; WaveLimiterHint : 1
; COMPUTE_PGM_RSRC2:SCRATCH_EN: 0
; COMPUTE_PGM_RSRC2:USER_SGPR: 13
; COMPUTE_PGM_RSRC2:TRAP_HANDLER: 0
; COMPUTE_PGM_RSRC2:TGID_X_EN: 1
; COMPUTE_PGM_RSRC2:TGID_Y_EN: 1
; COMPUTE_PGM_RSRC2:TGID_Z_EN: 1
; COMPUTE_PGM_RSRC2:TIDIG_COMP_CNT: 0
	.section	.text._ZN2at6native12_GLOBAL__N_131replication_pad_backward_kernelIfEEvN5torch10headeronly6detail27GenericPackedTensorAccessorINS5_14TensorAccessorIN3c108ArrayRefIlEET_Lm3ENS4_16DefaultPtrTraitsElEENS_6detail16IndexBoundsCheckILm4ElEESB_Lm4ESC_lEENS6_INS7_ISA_KSB_Lm3ESC_lEESG_SI_Lm4ESC_lEEiiii,"axG",@progbits,_ZN2at6native12_GLOBAL__N_131replication_pad_backward_kernelIfEEvN5torch10headeronly6detail27GenericPackedTensorAccessorINS5_14TensorAccessorIN3c108ArrayRefIlEET_Lm3ENS4_16DefaultPtrTraitsElEENS_6detail16IndexBoundsCheckILm4ElEESB_Lm4ESC_lEENS6_INS7_ISA_KSB_Lm3ESC_lEESG_SI_Lm4ESC_lEEiiii,comdat
	.globl	_ZN2at6native12_GLOBAL__N_131replication_pad_backward_kernelIfEEvN5torch10headeronly6detail27GenericPackedTensorAccessorINS5_14TensorAccessorIN3c108ArrayRefIlEET_Lm3ENS4_16DefaultPtrTraitsElEENS_6detail16IndexBoundsCheckILm4ElEESB_Lm4ESC_lEENS6_INS7_ISA_KSB_Lm3ESC_lEESG_SI_Lm4ESC_lEEiiii ; -- Begin function _ZN2at6native12_GLOBAL__N_131replication_pad_backward_kernelIfEEvN5torch10headeronly6detail27GenericPackedTensorAccessorINS5_14TensorAccessorIN3c108ArrayRefIlEET_Lm3ENS4_16DefaultPtrTraitsElEENS_6detail16IndexBoundsCheckILm4ElEESB_Lm4ESC_lEENS6_INS7_ISA_KSB_Lm3ESC_lEESG_SI_Lm4ESC_lEEiiii
	.p2align	8
	.type	_ZN2at6native12_GLOBAL__N_131replication_pad_backward_kernelIfEEvN5torch10headeronly6detail27GenericPackedTensorAccessorINS5_14TensorAccessorIN3c108ArrayRefIlEET_Lm3ENS4_16DefaultPtrTraitsElEENS_6detail16IndexBoundsCheckILm4ElEESB_Lm4ESC_lEENS6_INS7_ISA_KSB_Lm3ESC_lEESG_SI_Lm4ESC_lEEiiii,@function
_ZN2at6native12_GLOBAL__N_131replication_pad_backward_kernelIfEEvN5torch10headeronly6detail27GenericPackedTensorAccessorINS5_14TensorAccessorIN3c108ArrayRefIlEET_Lm3ENS4_16DefaultPtrTraitsElEENS_6detail16IndexBoundsCheckILm4ElEESB_Lm4ESC_lEENS6_INS7_ISA_KSB_Lm3ESC_lEESG_SI_Lm4ESC_lEEiiii: ; @_ZN2at6native12_GLOBAL__N_131replication_pad_backward_kernelIfEEvN5torch10headeronly6detail27GenericPackedTensorAccessorINS5_14TensorAccessorIN3c108ArrayRefIlEET_Lm3ENS4_16DefaultPtrTraitsElEENS_6detail16IndexBoundsCheckILm4ElEESB_Lm4ESC_lEENS6_INS7_ISA_KSB_Lm3ESC_lEESG_SI_Lm4ESC_lEEiiii
; %bb.0:
	s_clause 0x1
	s_load_b32 s2, s[0:1], 0xac
	s_load_b128 s[4:7], s[0:1], 0x60
	s_waitcnt lgkmcnt(0)
	s_and_b32 s2, s2, 0xffff
	s_mul_hi_u32 s3, s6, s4
	v_mad_u64_u32 v[1:2], null, s13, s2, v[0:1]
	s_mul_i32 s2, s6, s5
	s_delay_alu instid0(SALU_CYCLE_1) | instskip(SKIP_1) | instid1(SALU_CYCLE_1)
	s_add_i32 s2, s3, s2
	s_mul_i32 s3, s7, s4
	s_add_i32 s3, s2, s3
	s_delay_alu instid0(VALU_DEP_1)
	v_ashrrev_i32_e32 v2, 31, v1
	s_mul_i32 s2, s6, s4
	s_delay_alu instid0(VALU_DEP_1) | instid1(SALU_CYCLE_1)
	v_cmp_gt_i64_e32 vcc_lo, s[2:3], v[1:2]
	s_and_saveexec_b32 s2, vcc_lo
	s_cbranch_execz .LBB1_7
; %bb.1:
	v_or_b32_e32 v4, s7, v2
	v_mov_b32_e32 v3, 0
	s_delay_alu instid0(VALU_DEP_1) | instskip(SKIP_1) | instid1(SALU_CYCLE_1)
	v_cmp_ne_u64_e32 vcc_lo, 0, v[3:4]
                                        ; implicit-def: $vgpr3_vgpr4
	s_and_saveexec_b32 s2, vcc_lo
	s_xor_b32 s3, exec_lo, s2
	s_cbranch_execz .LBB1_3
; %bb.2:
	s_ashr_i32 s4, s7, 31
	s_delay_alu instid0(SALU_CYCLE_1) | instskip(SKIP_2) | instid1(SALU_CYCLE_1)
	s_add_u32 s8, s6, s4
	s_mov_b32 s5, s4
	s_addc_u32 s9, s7, s4
	s_xor_b64 s[8:9], s[8:9], s[4:5]
	s_delay_alu instid0(SALU_CYCLE_1) | instskip(SKIP_3) | instid1(VALU_DEP_1)
	v_cvt_f32_u32_e32 v0, s8
	v_cvt_f32_u32_e32 v3, s9
	s_sub_u32 s2, 0, s8
	s_subb_u32 s5, 0, s9
	v_fmamk_f32 v0, v3, 0x4f800000, v0
	s_delay_alu instid0(VALU_DEP_1) | instskip(SKIP_2) | instid1(VALU_DEP_1)
	v_rcp_f32_e32 v0, v0
	s_waitcnt_depctr 0xfff
	v_mul_f32_e32 v0, 0x5f7ffffc, v0
	v_mul_f32_e32 v3, 0x2f800000, v0
	s_delay_alu instid0(VALU_DEP_1) | instskip(NEXT) | instid1(VALU_DEP_1)
	v_trunc_f32_e32 v3, v3
	v_fmamk_f32 v0, v3, 0xcf800000, v0
	v_cvt_u32_f32_e32 v3, v3
	s_delay_alu instid0(VALU_DEP_2) | instskip(NEXT) | instid1(VALU_DEP_2)
	v_cvt_u32_f32_e32 v0, v0
	v_mul_lo_u32 v4, s2, v3
	s_delay_alu instid0(VALU_DEP_2) | instskip(SKIP_1) | instid1(VALU_DEP_2)
	v_mul_hi_u32 v5, s2, v0
	v_mul_lo_u32 v6, s5, v0
	v_add_nc_u32_e32 v4, v5, v4
	v_mul_lo_u32 v5, s2, v0
	s_delay_alu instid0(VALU_DEP_2) | instskip(NEXT) | instid1(VALU_DEP_2)
	v_add_nc_u32_e32 v4, v4, v6
	v_mul_hi_u32 v6, v0, v5
	s_delay_alu instid0(VALU_DEP_2)
	v_mul_lo_u32 v7, v0, v4
	v_mul_hi_u32 v8, v0, v4
	v_mul_hi_u32 v9, v3, v5
	v_mul_lo_u32 v5, v3, v5
	v_mul_hi_u32 v10, v3, v4
	v_mul_lo_u32 v4, v3, v4
	v_add_co_u32 v6, vcc_lo, v6, v7
	v_add_co_ci_u32_e32 v7, vcc_lo, 0, v8, vcc_lo
	s_delay_alu instid0(VALU_DEP_2) | instskip(NEXT) | instid1(VALU_DEP_2)
	v_add_co_u32 v5, vcc_lo, v6, v5
	v_add_co_ci_u32_e32 v5, vcc_lo, v7, v9, vcc_lo
	v_add_co_ci_u32_e32 v6, vcc_lo, 0, v10, vcc_lo
	v_ashrrev_i32_e32 v9, 31, v2
	s_delay_alu instid0(VALU_DEP_3) | instskip(NEXT) | instid1(VALU_DEP_3)
	v_add_co_u32 v4, vcc_lo, v5, v4
	v_add_co_ci_u32_e32 v5, vcc_lo, 0, v6, vcc_lo
	s_delay_alu instid0(VALU_DEP_2) | instskip(NEXT) | instid1(VALU_DEP_2)
	v_add_co_u32 v0, vcc_lo, v0, v4
	v_add_co_ci_u32_e32 v3, vcc_lo, v3, v5, vcc_lo
	s_delay_alu instid0(VALU_DEP_2) | instskip(SKIP_1) | instid1(VALU_DEP_3)
	v_mul_hi_u32 v4, s2, v0
	v_mul_lo_u32 v6, s5, v0
	v_mul_lo_u32 v5, s2, v3
	s_delay_alu instid0(VALU_DEP_1) | instskip(SKIP_1) | instid1(VALU_DEP_2)
	v_add_nc_u32_e32 v4, v4, v5
	v_mul_lo_u32 v5, s2, v0
	v_add_nc_u32_e32 v4, v4, v6
	s_delay_alu instid0(VALU_DEP_2) | instskip(NEXT) | instid1(VALU_DEP_2)
	v_mul_hi_u32 v6, v0, v5
	v_mul_lo_u32 v7, v0, v4
	v_mul_hi_u32 v8, v0, v4
	v_mul_hi_u32 v10, v3, v5
	v_mul_lo_u32 v5, v3, v5
	v_mul_hi_u32 v11, v3, v4
	v_mul_lo_u32 v4, v3, v4
	v_add_co_u32 v6, vcc_lo, v6, v7
	v_add_co_ci_u32_e32 v7, vcc_lo, 0, v8, vcc_lo
	s_delay_alu instid0(VALU_DEP_2) | instskip(NEXT) | instid1(VALU_DEP_2)
	v_add_co_u32 v5, vcc_lo, v6, v5
	v_add_co_ci_u32_e32 v5, vcc_lo, v7, v10, vcc_lo
	v_add_co_ci_u32_e32 v6, vcc_lo, 0, v11, vcc_lo
	v_add_co_u32 v7, vcc_lo, v1, v9
	v_add_co_ci_u32_e32 v8, vcc_lo, v2, v9, vcc_lo
	s_delay_alu instid0(VALU_DEP_4) | instskip(NEXT) | instid1(VALU_DEP_4)
	v_add_co_u32 v4, vcc_lo, v5, v4
	v_add_co_ci_u32_e32 v5, vcc_lo, 0, v6, vcc_lo
	s_delay_alu instid0(VALU_DEP_4) | instskip(NEXT) | instid1(VALU_DEP_3)
	v_xor_b32_e32 v10, v7, v9
	v_add_co_u32 v0, vcc_lo, v0, v4
	s_delay_alu instid0(VALU_DEP_3) | instskip(SKIP_1) | instid1(VALU_DEP_3)
	v_add_co_ci_u32_e32 v11, vcc_lo, v3, v5, vcc_lo
	v_xor_b32_e32 v12, v8, v9
	v_mul_hi_u32 v13, v10, v0
	s_delay_alu instid0(VALU_DEP_3) | instskip(NEXT) | instid1(VALU_DEP_3)
	v_mad_u64_u32 v[3:4], null, v10, v11, 0
	v_mad_u64_u32 v[5:6], null, v12, v0, 0
	;; [unrolled: 1-line block ×3, first 2 shown]
	s_delay_alu instid0(VALU_DEP_3) | instskip(NEXT) | instid1(VALU_DEP_4)
	v_add_co_u32 v0, vcc_lo, v13, v3
	v_add_co_ci_u32_e32 v3, vcc_lo, 0, v4, vcc_lo
	s_delay_alu instid0(VALU_DEP_2) | instskip(NEXT) | instid1(VALU_DEP_2)
	v_add_co_u32 v0, vcc_lo, v0, v5
	v_add_co_ci_u32_e32 v0, vcc_lo, v3, v6, vcc_lo
	v_add_co_ci_u32_e32 v3, vcc_lo, 0, v8, vcc_lo
	s_delay_alu instid0(VALU_DEP_2) | instskip(NEXT) | instid1(VALU_DEP_2)
	v_add_co_u32 v0, vcc_lo, v0, v7
	v_add_co_ci_u32_e32 v5, vcc_lo, 0, v3, vcc_lo
	s_delay_alu instid0(VALU_DEP_2) | instskip(SKIP_1) | instid1(VALU_DEP_3)
	v_mul_lo_u32 v6, s9, v0
	v_mad_u64_u32 v[3:4], null, s8, v0, 0
	v_mul_lo_u32 v7, s8, v5
	s_delay_alu instid0(VALU_DEP_2) | instskip(NEXT) | instid1(VALU_DEP_2)
	v_sub_co_u32 v3, vcc_lo, v10, v3
	v_add3_u32 v4, v4, v7, v6
	s_delay_alu instid0(VALU_DEP_1) | instskip(NEXT) | instid1(VALU_DEP_1)
	v_sub_nc_u32_e32 v6, v12, v4
	v_subrev_co_ci_u32_e64 v6, s2, s9, v6, vcc_lo
	v_add_co_u32 v7, s2, v0, 2
	s_delay_alu instid0(VALU_DEP_1) | instskip(SKIP_3) | instid1(VALU_DEP_3)
	v_add_co_ci_u32_e64 v8, s2, 0, v5, s2
	v_sub_co_u32 v10, s2, v3, s8
	v_sub_co_ci_u32_e32 v4, vcc_lo, v12, v4, vcc_lo
	v_subrev_co_ci_u32_e64 v6, s2, 0, v6, s2
	v_cmp_le_u32_e32 vcc_lo, s8, v10
	s_delay_alu instid0(VALU_DEP_3) | instskip(SKIP_1) | instid1(VALU_DEP_4)
	v_cmp_eq_u32_e64 s2, s9, v4
	v_cndmask_b32_e64 v10, 0, -1, vcc_lo
	v_cmp_le_u32_e32 vcc_lo, s9, v6
	v_cndmask_b32_e64 v11, 0, -1, vcc_lo
	v_cmp_le_u32_e32 vcc_lo, s8, v3
	;; [unrolled: 2-line block ×3, first 2 shown]
	v_cndmask_b32_e64 v12, 0, -1, vcc_lo
	v_cmp_eq_u32_e32 vcc_lo, s9, v6
	s_delay_alu instid0(VALU_DEP_2) | instskip(SKIP_3) | instid1(VALU_DEP_3)
	v_cndmask_b32_e64 v3, v12, v3, s2
	v_cndmask_b32_e32 v6, v11, v10, vcc_lo
	v_add_co_u32 v10, vcc_lo, v0, 1
	v_add_co_ci_u32_e32 v11, vcc_lo, 0, v5, vcc_lo
	v_cmp_ne_u32_e32 vcc_lo, 0, v6
	s_delay_alu instid0(VALU_DEP_2) | instskip(NEXT) | instid1(VALU_DEP_4)
	v_cndmask_b32_e32 v4, v11, v8, vcc_lo
	v_cndmask_b32_e32 v6, v10, v7, vcc_lo
	v_cmp_ne_u32_e32 vcc_lo, 0, v3
	v_xor_b32_e32 v7, s4, v9
	s_delay_alu instid0(VALU_DEP_3) | instskip(NEXT) | instid1(VALU_DEP_1)
	v_dual_cndmask_b32 v0, v0, v6 :: v_dual_cndmask_b32 v3, v5, v4
	v_xor_b32_e32 v0, v0, v7
	s_delay_alu instid0(VALU_DEP_2) | instskip(NEXT) | instid1(VALU_DEP_2)
	v_xor_b32_e32 v4, v3, v7
	v_sub_co_u32 v3, vcc_lo, v0, v7
	s_delay_alu instid0(VALU_DEP_2)
	v_sub_co_ci_u32_e32 v4, vcc_lo, v4, v7, vcc_lo
.LBB1_3:
	s_and_not1_saveexec_b32 s2, s3
	s_cbranch_execz .LBB1_5
; %bb.4:
	v_cvt_f32_u32_e32 v0, s6
	s_sub_i32 s3, 0, s6
	s_delay_alu instid0(VALU_DEP_1) | instskip(SKIP_2) | instid1(VALU_DEP_1)
	v_rcp_iflag_f32_e32 v0, v0
	s_waitcnt_depctr 0xfff
	v_mul_f32_e32 v0, 0x4f7ffffe, v0
	v_cvt_u32_f32_e32 v0, v0
	s_delay_alu instid0(VALU_DEP_1) | instskip(NEXT) | instid1(VALU_DEP_1)
	v_mul_lo_u32 v3, s3, v0
	v_mul_hi_u32 v3, v0, v3
	s_delay_alu instid0(VALU_DEP_1) | instskip(NEXT) | instid1(VALU_DEP_1)
	v_add_nc_u32_e32 v0, v0, v3
	v_mul_hi_u32 v0, v1, v0
	s_delay_alu instid0(VALU_DEP_1) | instskip(SKIP_1) | instid1(VALU_DEP_2)
	v_mul_lo_u32 v3, v0, s6
	v_add_nc_u32_e32 v4, 1, v0
	v_sub_nc_u32_e32 v3, v1, v3
	s_delay_alu instid0(VALU_DEP_1) | instskip(SKIP_1) | instid1(VALU_DEP_2)
	v_subrev_nc_u32_e32 v5, s6, v3
	v_cmp_le_u32_e32 vcc_lo, s6, v3
	v_dual_cndmask_b32 v3, v3, v5 :: v_dual_cndmask_b32 v0, v0, v4
	s_delay_alu instid0(VALU_DEP_1) | instskip(NEXT) | instid1(VALU_DEP_2)
	v_cmp_le_u32_e32 vcc_lo, s6, v3
	v_add_nc_u32_e32 v4, 1, v0
	s_delay_alu instid0(VALU_DEP_1)
	v_dual_cndmask_b32 v3, v0, v4 :: v_dual_mov_b32 v4, 0
.LBB1_5:
	s_or_b32 exec_lo, exec_lo, s2
	s_load_b128 s[24:27], s[0:1], 0x90
	s_delay_alu instid0(VALU_DEP_1) | instskip(NEXT) | instid1(VALU_DEP_2)
	v_mul_lo_u32 v0, v4, s6
	v_mul_lo_u32 v6, v3, s7
	v_mad_u64_u32 v[4:5], null, v3, s6, 0
	s_clause 0x2
	s_load_b256 s[4:11], s[0:1], 0x18
	s_load_b256 s[16:23], s[0:1], 0x70
	s_load_b64 s[12:13], s[0:1], 0x0
	s_delay_alu instid0(VALU_DEP_1) | instskip(NEXT) | instid1(VALU_DEP_2)
	v_sub_co_u32 v4, vcc_lo, v1, v4
	v_add3_u32 v0, v5, v6, v0
	s_delay_alu instid0(VALU_DEP_1)
	v_sub_co_ci_u32_e32 v2, vcc_lo, v2, v0, vcc_lo
	s_waitcnt lgkmcnt(0)
	s_add_i32 s7, s15, s27
	s_add_i32 s26, s14, s26
	s_load_b64 s[14:15], s[0:1], 0x48
	s_sub_i32 s2, 0, s25
	s_add_i32 s6, s25, s6
	s_ashr_i32 s30, s7, 31
	s_add_i32 s6, s6, -1
	s_sub_i32 s3, 0, s24
	s_max_i32 s5, s25, 0
	s_max_i32 s28, s2, 0
	v_maxmin_i32 v5, s25, v4, s6
	s_mul_i32 s6, s16, s30
	s_mul_hi_u32 s25, s16, s7
	s_max_i32 s29, s3, 0
	s_load_b128 s[0:3], s[0:1], 0x38
	s_sub_i32 s28, s28, s5
	s_add_i32 s5, s25, s6
	s_mul_i32 s6, s17, s7
	s_add_i32 s17, s24, s4
	s_max_i32 s27, s24, 0
	s_add_i32 s17, s17, -1
	s_add_i32 s5, s5, s6
	v_maxmin_i32 v6, s24, v3, s17
	s_mul_i32 s4, s16, s7
	v_ashrrev_i32_e32 v0, 31, v3
	s_lshl_b64 s[4:5], s[4:5], 2
	s_sub_i32 s6, s29, s27
	s_waitcnt lgkmcnt(0)
	s_add_u32 s14, s14, s4
	v_add_nc_u32_e32 v6, s6, v6
	s_addc_u32 s15, s15, s5
	s_ashr_i32 s16, s26, 31
	v_mul_lo_u32 v7, s21, v3
	v_mul_lo_u32 v8, s20, v0
	v_mad_u64_u32 v[0:1], null, s20, v3, 0
	s_mul_i32 s4, s18, s16
	s_mul_hi_u32 s5, s18, s26
	v_add_nc_u32_e32 v9, s28, v5
	s_add_i32 s4, s5, s4
	s_mul_i32 s5, s19, s26
	v_ashrrev_i32_e32 v5, 31, v6
	s_add_i32 s5, s4, s5
	s_mul_i32 s4, s18, s26
	v_add3_u32 v1, v1, v8, v7
	s_lshl_b64 s[4:5], s[4:5], 2
	v_mul_lo_u32 v7, s23, v4
	v_mul_lo_u32 v8, s22, v2
	v_mad_u64_u32 v[2:3], null, s22, v4, 0
	v_mul_lo_u32 v10, s0, v5
	v_mul_lo_u32 v11, s1, v6
	v_mad_u64_u32 v[4:5], null, s0, v6, 0
	s_add_u32 s6, s14, s4
	s_addc_u32 s14, s15, s5
	s_mul_i32 s4, s8, s30
	s_mul_hi_u32 s5, s8, s7
	v_ashrrev_i32_e32 v6, 31, v9
	s_add_i32 s4, s5, s4
	s_mul_i32 s5, s9, s7
	v_lshlrev_b64 v[0:1], 2, v[0:1]
	s_add_i32 s5, s4, s5
	s_mul_i32 s4, s8, s7
	v_add3_u32 v3, v3, v8, v7
	s_lshl_b64 s[4:5], s[4:5], 2
	v_add3_u32 v5, v5, v10, v11
	v_mul_lo_u32 v8, s2, v6
	v_mul_lo_u32 v10, s3, v9
	v_mad_u64_u32 v[6:7], null, s2, v9, 0
	s_mul_i32 s7, s10, s16
	s_mul_hi_u32 s8, s10, s26
	s_add_u32 s4, s12, s4
	s_addc_u32 s5, s13, s5
	s_add_i32 s0, s8, s7
	s_mul_i32 s1, s11, s26
	v_add_co_u32 v9, vcc_lo, s6, v0
	s_add_i32 s1, s0, s1
	s_mul_i32 s0, s10, s26
	v_add_co_ci_u32_e32 v11, vcc_lo, s14, v1, vcc_lo
	v_lshlrev_b64 v[0:1], 2, v[4:5]
	s_lshl_b64 s[0:1], s[0:1], 2
	v_add3_u32 v7, v7, v8, v10
	s_add_u32 s0, s4, s0
	v_lshlrev_b64 v[2:3], 2, v[2:3]
	s_addc_u32 s1, s5, s1
	v_add_co_u32 v4, vcc_lo, s0, v0
	v_add_co_ci_u32_e32 v5, vcc_lo, s1, v1, vcc_lo
	v_lshlrev_b64 v[0:1], 2, v[6:7]
	s_delay_alu instid0(VALU_DEP_4) | instskip(SKIP_2) | instid1(VALU_DEP_3)
	v_add_co_u32 v2, vcc_lo, v9, v2
	v_add_co_ci_u32_e32 v3, vcc_lo, v11, v3, vcc_lo
	s_mov_b32 s0, 0
	v_add_co_u32 v0, vcc_lo, v4, v0
	s_delay_alu instid0(VALU_DEP_4)
	v_add_co_ci_u32_e32 v1, vcc_lo, v5, v1, vcc_lo
	global_load_b32 v4, v[2:3], off
	global_load_b32 v3, v[0:1], off
.LBB1_6:                                ; =>This Inner Loop Header: Depth=1
	s_waitcnt vmcnt(0)
	v_add_f32_e32 v2, v3, v4
	global_atomic_cmpswap_b32 v2, v[0:1], v[2:3], off glc
	s_waitcnt vmcnt(0)
	v_cmp_eq_u32_e32 vcc_lo, v2, v3
	v_mov_b32_e32 v3, v2
	s_or_b32 s0, vcc_lo, s0
	s_delay_alu instid0(SALU_CYCLE_1)
	s_and_not1_b32 exec_lo, exec_lo, s0
	s_cbranch_execnz .LBB1_6
.LBB1_7:
	s_endpgm
	.section	.rodata,"a",@progbits
	.p2align	6, 0x0
	.amdhsa_kernel _ZN2at6native12_GLOBAL__N_131replication_pad_backward_kernelIfEEvN5torch10headeronly6detail27GenericPackedTensorAccessorINS5_14TensorAccessorIN3c108ArrayRefIlEET_Lm3ENS4_16DefaultPtrTraitsElEENS_6detail16IndexBoundsCheckILm4ElEESB_Lm4ESC_lEENS6_INS7_ISA_KSB_Lm3ESC_lEESG_SI_Lm4ESC_lEEiiii
		.amdhsa_group_segment_fixed_size 0
		.amdhsa_private_segment_fixed_size 0
		.amdhsa_kernarg_size 416
		.amdhsa_user_sgpr_count 13
		.amdhsa_user_sgpr_dispatch_ptr 0
		.amdhsa_user_sgpr_queue_ptr 0
		.amdhsa_user_sgpr_kernarg_segment_ptr 1
		.amdhsa_user_sgpr_dispatch_id 0
		.amdhsa_user_sgpr_private_segment_size 0
		.amdhsa_wavefront_size32 1
		.amdhsa_uses_dynamic_stack 0
		.amdhsa_enable_private_segment 0
		.amdhsa_system_sgpr_workgroup_id_x 1
		.amdhsa_system_sgpr_workgroup_id_y 1
		.amdhsa_system_sgpr_workgroup_id_z 1
		.amdhsa_system_sgpr_workgroup_info 0
		.amdhsa_system_vgpr_workitem_id 0
		.amdhsa_next_free_vgpr 14
		.amdhsa_next_free_sgpr 31
		.amdhsa_reserve_vcc 1
		.amdhsa_float_round_mode_32 0
		.amdhsa_float_round_mode_16_64 0
		.amdhsa_float_denorm_mode_32 3
		.amdhsa_float_denorm_mode_16_64 3
		.amdhsa_dx10_clamp 1
		.amdhsa_ieee_mode 1
		.amdhsa_fp16_overflow 0
		.amdhsa_workgroup_processor_mode 1
		.amdhsa_memory_ordered 1
		.amdhsa_forward_progress 0
		.amdhsa_shared_vgpr_count 0
		.amdhsa_exception_fp_ieee_invalid_op 0
		.amdhsa_exception_fp_denorm_src 0
		.amdhsa_exception_fp_ieee_div_zero 0
		.amdhsa_exception_fp_ieee_overflow 0
		.amdhsa_exception_fp_ieee_underflow 0
		.amdhsa_exception_fp_ieee_inexact 0
		.amdhsa_exception_int_div_zero 0
	.end_amdhsa_kernel
	.section	.text._ZN2at6native12_GLOBAL__N_131replication_pad_backward_kernelIfEEvN5torch10headeronly6detail27GenericPackedTensorAccessorINS5_14TensorAccessorIN3c108ArrayRefIlEET_Lm3ENS4_16DefaultPtrTraitsElEENS_6detail16IndexBoundsCheckILm4ElEESB_Lm4ESC_lEENS6_INS7_ISA_KSB_Lm3ESC_lEESG_SI_Lm4ESC_lEEiiii,"axG",@progbits,_ZN2at6native12_GLOBAL__N_131replication_pad_backward_kernelIfEEvN5torch10headeronly6detail27GenericPackedTensorAccessorINS5_14TensorAccessorIN3c108ArrayRefIlEET_Lm3ENS4_16DefaultPtrTraitsElEENS_6detail16IndexBoundsCheckILm4ElEESB_Lm4ESC_lEENS6_INS7_ISA_KSB_Lm3ESC_lEESG_SI_Lm4ESC_lEEiiii,comdat
.Lfunc_end1:
	.size	_ZN2at6native12_GLOBAL__N_131replication_pad_backward_kernelIfEEvN5torch10headeronly6detail27GenericPackedTensorAccessorINS5_14TensorAccessorIN3c108ArrayRefIlEET_Lm3ENS4_16DefaultPtrTraitsElEENS_6detail16IndexBoundsCheckILm4ElEESB_Lm4ESC_lEENS6_INS7_ISA_KSB_Lm3ESC_lEESG_SI_Lm4ESC_lEEiiii, .Lfunc_end1-_ZN2at6native12_GLOBAL__N_131replication_pad_backward_kernelIfEEvN5torch10headeronly6detail27GenericPackedTensorAccessorINS5_14TensorAccessorIN3c108ArrayRefIlEET_Lm3ENS4_16DefaultPtrTraitsElEENS_6detail16IndexBoundsCheckILm4ElEESB_Lm4ESC_lEENS6_INS7_ISA_KSB_Lm3ESC_lEESG_SI_Lm4ESC_lEEiiii
                                        ; -- End function
	.section	.AMDGPU.csdata,"",@progbits
; Kernel info:
; codeLenInByte = 1736
; NumSgprs: 33
; NumVgprs: 14
; ScratchSize: 0
; MemoryBound: 0
; FloatMode: 240
; IeeeMode: 1
; LDSByteSize: 0 bytes/workgroup (compile time only)
; SGPRBlocks: 4
; VGPRBlocks: 1
; NumSGPRsForWavesPerEU: 33
; NumVGPRsForWavesPerEU: 14
; Occupancy: 16
; WaveLimiterHint : 1
; COMPUTE_PGM_RSRC2:SCRATCH_EN: 0
; COMPUTE_PGM_RSRC2:USER_SGPR: 13
; COMPUTE_PGM_RSRC2:TRAP_HANDLER: 0
; COMPUTE_PGM_RSRC2:TGID_X_EN: 1
; COMPUTE_PGM_RSRC2:TGID_Y_EN: 1
; COMPUTE_PGM_RSRC2:TGID_Z_EN: 1
; COMPUTE_PGM_RSRC2:TIDIG_COMP_CNT: 0
	.section	.text._ZN2at6native12_GLOBAL__N_131replication_pad_backward_kernelIN3c107complexIdEEEEvN5torch10headeronly6detail27GenericPackedTensorAccessorINS8_14TensorAccessorINS3_8ArrayRefIlEET_Lm3ENS7_16DefaultPtrTraitsElEENS_6detail16IndexBoundsCheckILm4ElEESD_Lm4ESE_lEENS9_INSA_ISC_KSD_Lm3ESE_lEESI_SK_Lm4ESE_lEEiiii,"axG",@progbits,_ZN2at6native12_GLOBAL__N_131replication_pad_backward_kernelIN3c107complexIdEEEEvN5torch10headeronly6detail27GenericPackedTensorAccessorINS8_14TensorAccessorINS3_8ArrayRefIlEET_Lm3ENS7_16DefaultPtrTraitsElEENS_6detail16IndexBoundsCheckILm4ElEESD_Lm4ESE_lEENS9_INSA_ISC_KSD_Lm3ESE_lEESI_SK_Lm4ESE_lEEiiii,comdat
	.globl	_ZN2at6native12_GLOBAL__N_131replication_pad_backward_kernelIN3c107complexIdEEEEvN5torch10headeronly6detail27GenericPackedTensorAccessorINS8_14TensorAccessorINS3_8ArrayRefIlEET_Lm3ENS7_16DefaultPtrTraitsElEENS_6detail16IndexBoundsCheckILm4ElEESD_Lm4ESE_lEENS9_INSA_ISC_KSD_Lm3ESE_lEESI_SK_Lm4ESE_lEEiiii ; -- Begin function _ZN2at6native12_GLOBAL__N_131replication_pad_backward_kernelIN3c107complexIdEEEEvN5torch10headeronly6detail27GenericPackedTensorAccessorINS8_14TensorAccessorINS3_8ArrayRefIlEET_Lm3ENS7_16DefaultPtrTraitsElEENS_6detail16IndexBoundsCheckILm4ElEESD_Lm4ESE_lEENS9_INSA_ISC_KSD_Lm3ESE_lEESI_SK_Lm4ESE_lEEiiii
	.p2align	8
	.type	_ZN2at6native12_GLOBAL__N_131replication_pad_backward_kernelIN3c107complexIdEEEEvN5torch10headeronly6detail27GenericPackedTensorAccessorINS8_14TensorAccessorINS3_8ArrayRefIlEET_Lm3ENS7_16DefaultPtrTraitsElEENS_6detail16IndexBoundsCheckILm4ElEESD_Lm4ESE_lEENS9_INSA_ISC_KSD_Lm3ESE_lEESI_SK_Lm4ESE_lEEiiii,@function
_ZN2at6native12_GLOBAL__N_131replication_pad_backward_kernelIN3c107complexIdEEEEvN5torch10headeronly6detail27GenericPackedTensorAccessorINS8_14TensorAccessorINS3_8ArrayRefIlEET_Lm3ENS7_16DefaultPtrTraitsElEENS_6detail16IndexBoundsCheckILm4ElEESD_Lm4ESE_lEENS9_INSA_ISC_KSD_Lm3ESE_lEESI_SK_Lm4ESE_lEEiiii: ; @_ZN2at6native12_GLOBAL__N_131replication_pad_backward_kernelIN3c107complexIdEEEEvN5torch10headeronly6detail27GenericPackedTensorAccessorINS8_14TensorAccessorINS3_8ArrayRefIlEET_Lm3ENS7_16DefaultPtrTraitsElEENS_6detail16IndexBoundsCheckILm4ElEESD_Lm4ESE_lEENS9_INSA_ISC_KSD_Lm3ESE_lEESI_SK_Lm4ESE_lEEiiii
; %bb.0:
	s_clause 0x1
	s_load_b32 s2, s[0:1], 0xac
	s_load_b128 s[4:7], s[0:1], 0x60
	s_waitcnt lgkmcnt(0)
	s_and_b32 s2, s2, 0xffff
	s_mul_hi_u32 s3, s6, s4
	v_mad_u64_u32 v[1:2], null, s13, s2, v[0:1]
	s_mul_i32 s2, s6, s5
	s_delay_alu instid0(SALU_CYCLE_1) | instskip(SKIP_1) | instid1(SALU_CYCLE_1)
	s_add_i32 s2, s3, s2
	s_mul_i32 s3, s7, s4
	s_add_i32 s3, s2, s3
	s_delay_alu instid0(VALU_DEP_1)
	v_ashrrev_i32_e32 v2, 31, v1
	s_mul_i32 s2, s6, s4
	s_delay_alu instid0(VALU_DEP_1) | instid1(SALU_CYCLE_1)
	v_cmp_gt_i64_e32 vcc_lo, s[2:3], v[1:2]
	s_and_saveexec_b32 s2, vcc_lo
	s_cbranch_execz .LBB2_9
; %bb.1:
	v_or_b32_e32 v4, s7, v2
	v_mov_b32_e32 v3, 0
	s_delay_alu instid0(VALU_DEP_1) | instskip(SKIP_1) | instid1(SALU_CYCLE_1)
	v_cmp_ne_u64_e32 vcc_lo, 0, v[3:4]
                                        ; implicit-def: $vgpr3_vgpr4
	s_and_saveexec_b32 s2, vcc_lo
	s_xor_b32 s3, exec_lo, s2
	s_cbranch_execz .LBB2_3
; %bb.2:
	s_ashr_i32 s4, s7, 31
	s_delay_alu instid0(SALU_CYCLE_1) | instskip(SKIP_2) | instid1(SALU_CYCLE_1)
	s_add_u32 s8, s6, s4
	s_mov_b32 s5, s4
	s_addc_u32 s9, s7, s4
	s_xor_b64 s[8:9], s[8:9], s[4:5]
	s_delay_alu instid0(SALU_CYCLE_1) | instskip(SKIP_3) | instid1(VALU_DEP_1)
	v_cvt_f32_u32_e32 v0, s8
	v_cvt_f32_u32_e32 v3, s9
	s_sub_u32 s2, 0, s8
	s_subb_u32 s5, 0, s9
	v_fmamk_f32 v0, v3, 0x4f800000, v0
	s_delay_alu instid0(VALU_DEP_1) | instskip(SKIP_2) | instid1(VALU_DEP_1)
	v_rcp_f32_e32 v0, v0
	s_waitcnt_depctr 0xfff
	v_mul_f32_e32 v0, 0x5f7ffffc, v0
	v_mul_f32_e32 v3, 0x2f800000, v0
	s_delay_alu instid0(VALU_DEP_1) | instskip(NEXT) | instid1(VALU_DEP_1)
	v_trunc_f32_e32 v3, v3
	v_fmamk_f32 v0, v3, 0xcf800000, v0
	v_cvt_u32_f32_e32 v3, v3
	s_delay_alu instid0(VALU_DEP_2) | instskip(NEXT) | instid1(VALU_DEP_2)
	v_cvt_u32_f32_e32 v0, v0
	v_mul_lo_u32 v4, s2, v3
	s_delay_alu instid0(VALU_DEP_2) | instskip(SKIP_1) | instid1(VALU_DEP_2)
	v_mul_hi_u32 v5, s2, v0
	v_mul_lo_u32 v6, s5, v0
	v_add_nc_u32_e32 v4, v5, v4
	v_mul_lo_u32 v5, s2, v0
	s_delay_alu instid0(VALU_DEP_2) | instskip(NEXT) | instid1(VALU_DEP_2)
	v_add_nc_u32_e32 v4, v4, v6
	v_mul_hi_u32 v6, v0, v5
	s_delay_alu instid0(VALU_DEP_2)
	v_mul_lo_u32 v7, v0, v4
	v_mul_hi_u32 v8, v0, v4
	v_mul_hi_u32 v9, v3, v5
	v_mul_lo_u32 v5, v3, v5
	v_mul_hi_u32 v10, v3, v4
	v_mul_lo_u32 v4, v3, v4
	v_add_co_u32 v6, vcc_lo, v6, v7
	v_add_co_ci_u32_e32 v7, vcc_lo, 0, v8, vcc_lo
	s_delay_alu instid0(VALU_DEP_2) | instskip(NEXT) | instid1(VALU_DEP_2)
	v_add_co_u32 v5, vcc_lo, v6, v5
	v_add_co_ci_u32_e32 v5, vcc_lo, v7, v9, vcc_lo
	v_add_co_ci_u32_e32 v6, vcc_lo, 0, v10, vcc_lo
	v_ashrrev_i32_e32 v9, 31, v2
	s_delay_alu instid0(VALU_DEP_3) | instskip(NEXT) | instid1(VALU_DEP_3)
	v_add_co_u32 v4, vcc_lo, v5, v4
	v_add_co_ci_u32_e32 v5, vcc_lo, 0, v6, vcc_lo
	s_delay_alu instid0(VALU_DEP_2) | instskip(NEXT) | instid1(VALU_DEP_2)
	v_add_co_u32 v0, vcc_lo, v0, v4
	v_add_co_ci_u32_e32 v3, vcc_lo, v3, v5, vcc_lo
	s_delay_alu instid0(VALU_DEP_2) | instskip(SKIP_1) | instid1(VALU_DEP_3)
	v_mul_hi_u32 v4, s2, v0
	v_mul_lo_u32 v6, s5, v0
	v_mul_lo_u32 v5, s2, v3
	s_delay_alu instid0(VALU_DEP_1) | instskip(SKIP_1) | instid1(VALU_DEP_2)
	v_add_nc_u32_e32 v4, v4, v5
	v_mul_lo_u32 v5, s2, v0
	v_add_nc_u32_e32 v4, v4, v6
	s_delay_alu instid0(VALU_DEP_2) | instskip(NEXT) | instid1(VALU_DEP_2)
	v_mul_hi_u32 v6, v0, v5
	v_mul_lo_u32 v7, v0, v4
	v_mul_hi_u32 v8, v0, v4
	v_mul_hi_u32 v10, v3, v5
	v_mul_lo_u32 v5, v3, v5
	v_mul_hi_u32 v11, v3, v4
	v_mul_lo_u32 v4, v3, v4
	v_add_co_u32 v6, vcc_lo, v6, v7
	v_add_co_ci_u32_e32 v7, vcc_lo, 0, v8, vcc_lo
	s_delay_alu instid0(VALU_DEP_2) | instskip(NEXT) | instid1(VALU_DEP_2)
	v_add_co_u32 v5, vcc_lo, v6, v5
	v_add_co_ci_u32_e32 v5, vcc_lo, v7, v10, vcc_lo
	v_add_co_ci_u32_e32 v6, vcc_lo, 0, v11, vcc_lo
	v_add_co_u32 v7, vcc_lo, v1, v9
	v_add_co_ci_u32_e32 v8, vcc_lo, v2, v9, vcc_lo
	s_delay_alu instid0(VALU_DEP_4) | instskip(NEXT) | instid1(VALU_DEP_4)
	v_add_co_u32 v4, vcc_lo, v5, v4
	v_add_co_ci_u32_e32 v5, vcc_lo, 0, v6, vcc_lo
	s_delay_alu instid0(VALU_DEP_4) | instskip(NEXT) | instid1(VALU_DEP_3)
	v_xor_b32_e32 v10, v7, v9
	v_add_co_u32 v0, vcc_lo, v0, v4
	s_delay_alu instid0(VALU_DEP_3) | instskip(SKIP_1) | instid1(VALU_DEP_3)
	v_add_co_ci_u32_e32 v11, vcc_lo, v3, v5, vcc_lo
	v_xor_b32_e32 v12, v8, v9
	v_mul_hi_u32 v13, v10, v0
	s_delay_alu instid0(VALU_DEP_3) | instskip(NEXT) | instid1(VALU_DEP_3)
	v_mad_u64_u32 v[3:4], null, v10, v11, 0
	v_mad_u64_u32 v[5:6], null, v12, v0, 0
	;; [unrolled: 1-line block ×3, first 2 shown]
	s_delay_alu instid0(VALU_DEP_3) | instskip(NEXT) | instid1(VALU_DEP_4)
	v_add_co_u32 v0, vcc_lo, v13, v3
	v_add_co_ci_u32_e32 v3, vcc_lo, 0, v4, vcc_lo
	s_delay_alu instid0(VALU_DEP_2) | instskip(NEXT) | instid1(VALU_DEP_2)
	v_add_co_u32 v0, vcc_lo, v0, v5
	v_add_co_ci_u32_e32 v0, vcc_lo, v3, v6, vcc_lo
	v_add_co_ci_u32_e32 v3, vcc_lo, 0, v8, vcc_lo
	s_delay_alu instid0(VALU_DEP_2) | instskip(NEXT) | instid1(VALU_DEP_2)
	v_add_co_u32 v0, vcc_lo, v0, v7
	v_add_co_ci_u32_e32 v5, vcc_lo, 0, v3, vcc_lo
	s_delay_alu instid0(VALU_DEP_2) | instskip(SKIP_1) | instid1(VALU_DEP_3)
	v_mul_lo_u32 v6, s9, v0
	v_mad_u64_u32 v[3:4], null, s8, v0, 0
	v_mul_lo_u32 v7, s8, v5
	s_delay_alu instid0(VALU_DEP_2) | instskip(NEXT) | instid1(VALU_DEP_2)
	v_sub_co_u32 v3, vcc_lo, v10, v3
	v_add3_u32 v4, v4, v7, v6
	s_delay_alu instid0(VALU_DEP_1) | instskip(NEXT) | instid1(VALU_DEP_1)
	v_sub_nc_u32_e32 v6, v12, v4
	v_subrev_co_ci_u32_e64 v6, s2, s9, v6, vcc_lo
	v_add_co_u32 v7, s2, v0, 2
	s_delay_alu instid0(VALU_DEP_1) | instskip(SKIP_3) | instid1(VALU_DEP_3)
	v_add_co_ci_u32_e64 v8, s2, 0, v5, s2
	v_sub_co_u32 v10, s2, v3, s8
	v_sub_co_ci_u32_e32 v4, vcc_lo, v12, v4, vcc_lo
	v_subrev_co_ci_u32_e64 v6, s2, 0, v6, s2
	v_cmp_le_u32_e32 vcc_lo, s8, v10
	s_delay_alu instid0(VALU_DEP_3) | instskip(SKIP_1) | instid1(VALU_DEP_4)
	v_cmp_eq_u32_e64 s2, s9, v4
	v_cndmask_b32_e64 v10, 0, -1, vcc_lo
	v_cmp_le_u32_e32 vcc_lo, s9, v6
	v_cndmask_b32_e64 v11, 0, -1, vcc_lo
	v_cmp_le_u32_e32 vcc_lo, s8, v3
	;; [unrolled: 2-line block ×3, first 2 shown]
	v_cndmask_b32_e64 v12, 0, -1, vcc_lo
	v_cmp_eq_u32_e32 vcc_lo, s9, v6
	s_delay_alu instid0(VALU_DEP_2) | instskip(SKIP_3) | instid1(VALU_DEP_3)
	v_cndmask_b32_e64 v3, v12, v3, s2
	v_cndmask_b32_e32 v6, v11, v10, vcc_lo
	v_add_co_u32 v10, vcc_lo, v0, 1
	v_add_co_ci_u32_e32 v11, vcc_lo, 0, v5, vcc_lo
	v_cmp_ne_u32_e32 vcc_lo, 0, v6
	s_delay_alu instid0(VALU_DEP_2) | instskip(NEXT) | instid1(VALU_DEP_4)
	v_cndmask_b32_e32 v4, v11, v8, vcc_lo
	v_cndmask_b32_e32 v6, v10, v7, vcc_lo
	v_cmp_ne_u32_e32 vcc_lo, 0, v3
	v_xor_b32_e32 v7, s4, v9
	s_delay_alu instid0(VALU_DEP_3) | instskip(NEXT) | instid1(VALU_DEP_1)
	v_dual_cndmask_b32 v0, v0, v6 :: v_dual_cndmask_b32 v3, v5, v4
	v_xor_b32_e32 v0, v0, v7
	s_delay_alu instid0(VALU_DEP_2) | instskip(NEXT) | instid1(VALU_DEP_2)
	v_xor_b32_e32 v4, v3, v7
	v_sub_co_u32 v3, vcc_lo, v0, v7
	s_delay_alu instid0(VALU_DEP_2)
	v_sub_co_ci_u32_e32 v4, vcc_lo, v4, v7, vcc_lo
.LBB2_3:
	s_and_not1_saveexec_b32 s2, s3
	s_cbranch_execz .LBB2_5
; %bb.4:
	v_cvt_f32_u32_e32 v0, s6
	s_sub_i32 s3, 0, s6
	s_delay_alu instid0(VALU_DEP_1) | instskip(SKIP_2) | instid1(VALU_DEP_1)
	v_rcp_iflag_f32_e32 v0, v0
	s_waitcnt_depctr 0xfff
	v_mul_f32_e32 v0, 0x4f7ffffe, v0
	v_cvt_u32_f32_e32 v0, v0
	s_delay_alu instid0(VALU_DEP_1) | instskip(NEXT) | instid1(VALU_DEP_1)
	v_mul_lo_u32 v3, s3, v0
	v_mul_hi_u32 v3, v0, v3
	s_delay_alu instid0(VALU_DEP_1) | instskip(NEXT) | instid1(VALU_DEP_1)
	v_add_nc_u32_e32 v0, v0, v3
	v_mul_hi_u32 v0, v1, v0
	s_delay_alu instid0(VALU_DEP_1) | instskip(SKIP_1) | instid1(VALU_DEP_2)
	v_mul_lo_u32 v3, v0, s6
	v_add_nc_u32_e32 v4, 1, v0
	v_sub_nc_u32_e32 v3, v1, v3
	s_delay_alu instid0(VALU_DEP_1) | instskip(SKIP_1) | instid1(VALU_DEP_2)
	v_subrev_nc_u32_e32 v5, s6, v3
	v_cmp_le_u32_e32 vcc_lo, s6, v3
	v_dual_cndmask_b32 v3, v3, v5 :: v_dual_cndmask_b32 v0, v0, v4
	s_delay_alu instid0(VALU_DEP_1) | instskip(NEXT) | instid1(VALU_DEP_2)
	v_cmp_le_u32_e32 vcc_lo, s6, v3
	v_add_nc_u32_e32 v4, 1, v0
	s_delay_alu instid0(VALU_DEP_1)
	v_dual_cndmask_b32 v3, v0, v4 :: v_dual_mov_b32 v4, 0
.LBB2_5:
	s_or_b32 exec_lo, exec_lo, s2
	s_load_b128 s[24:27], s[0:1], 0x90
	s_delay_alu instid0(VALU_DEP_1) | instskip(NEXT) | instid1(VALU_DEP_2)
	v_mul_lo_u32 v0, v4, s6
	v_mul_lo_u32 v6, v3, s7
	v_mad_u64_u32 v[4:5], null, v3, s6, 0
	s_clause 0x2
	s_load_b256 s[4:11], s[0:1], 0x18
	s_load_b256 s[16:23], s[0:1], 0x70
	s_load_b64 s[12:13], s[0:1], 0x0
	s_delay_alu instid0(VALU_DEP_1) | instskip(NEXT) | instid1(VALU_DEP_2)
	v_sub_co_u32 v4, vcc_lo, v1, v4
	v_add3_u32 v0, v5, v6, v0
	s_delay_alu instid0(VALU_DEP_1)
	v_sub_co_ci_u32_e32 v2, vcc_lo, v2, v0, vcc_lo
	s_waitcnt lgkmcnt(0)
	s_add_i32 s7, s15, s27
	s_add_i32 s26, s14, s26
	s_load_b64 s[14:15], s[0:1], 0x48
	s_sub_i32 s2, 0, s25
	s_add_i32 s6, s25, s6
	s_ashr_i32 s30, s7, 31
	s_add_i32 s6, s6, -1
	s_sub_i32 s3, 0, s24
	s_max_i32 s5, s25, 0
	s_max_i32 s28, s2, 0
	v_maxmin_i32 v5, s25, v4, s6
	s_mul_i32 s6, s16, s30
	s_mul_hi_u32 s25, s16, s7
	s_max_i32 s29, s3, 0
	s_load_b128 s[0:3], s[0:1], 0x38
	s_sub_i32 s28, s28, s5
	s_add_i32 s5, s25, s6
	s_mul_i32 s6, s17, s7
	s_add_i32 s17, s24, s4
	s_max_i32 s27, s24, 0
	s_add_i32 s17, s17, -1
	s_add_i32 s5, s5, s6
	v_maxmin_i32 v6, s24, v3, s17
	s_mul_i32 s4, s16, s7
	v_ashrrev_i32_e32 v0, 31, v3
	s_lshl_b64 s[4:5], s[4:5], 4
	s_sub_i32 s6, s29, s27
	s_waitcnt lgkmcnt(0)
	s_add_u32 s14, s14, s4
	v_add_nc_u32_e32 v6, s6, v6
	s_addc_u32 s15, s15, s5
	s_ashr_i32 s16, s26, 31
	v_mul_lo_u32 v7, s21, v3
	v_mul_lo_u32 v8, s20, v0
	v_mad_u64_u32 v[0:1], null, s20, v3, 0
	s_mul_i32 s4, s18, s16
	s_mul_hi_u32 s5, s18, s26
	v_add_nc_u32_e32 v9, s28, v5
	s_add_i32 s4, s5, s4
	s_mul_i32 s5, s19, s26
	v_ashrrev_i32_e32 v5, 31, v6
	s_add_i32 s5, s4, s5
	s_mul_i32 s4, s18, s26
	v_add3_u32 v1, v1, v8, v7
	s_lshl_b64 s[4:5], s[4:5], 4
	v_mul_lo_u32 v7, s23, v4
	v_mul_lo_u32 v8, s22, v2
	v_mad_u64_u32 v[2:3], null, s22, v4, 0
	v_mul_lo_u32 v10, s0, v5
	v_mul_lo_u32 v11, s1, v6
	v_mad_u64_u32 v[4:5], null, s0, v6, 0
	s_add_u32 s6, s14, s4
	s_addc_u32 s14, s15, s5
	s_mul_i32 s4, s8, s30
	s_mul_hi_u32 s5, s8, s7
	v_ashrrev_i32_e32 v6, 31, v9
	s_add_i32 s4, s5, s4
	s_mul_i32 s5, s9, s7
	v_lshlrev_b64 v[0:1], 4, v[0:1]
	s_add_i32 s5, s4, s5
	s_mul_i32 s4, s8, s7
	v_add3_u32 v3, v3, v8, v7
	s_lshl_b64 s[4:5], s[4:5], 4
	v_add3_u32 v5, v5, v10, v11
	v_mul_lo_u32 v8, s2, v6
	v_mul_lo_u32 v10, s3, v9
	v_mad_u64_u32 v[6:7], null, s2, v9, 0
	s_mul_i32 s7, s10, s16
	s_mul_hi_u32 s8, s10, s26
	s_add_u32 s4, s12, s4
	s_addc_u32 s5, s13, s5
	s_add_i32 s0, s8, s7
	s_mul_i32 s1, s11, s26
	v_add_co_u32 v9, vcc_lo, s6, v0
	s_add_i32 s1, s0, s1
	s_mul_i32 s0, s10, s26
	v_add_co_ci_u32_e32 v11, vcc_lo, s14, v1, vcc_lo
	v_lshlrev_b64 v[0:1], 4, v[4:5]
	s_lshl_b64 s[0:1], s[0:1], 4
	v_add3_u32 v7, v7, v8, v10
	s_add_u32 s0, s4, s0
	v_lshlrev_b64 v[2:3], 4, v[2:3]
	s_addc_u32 s1, s5, s1
	v_add_co_u32 v4, vcc_lo, s0, v0
	v_add_co_ci_u32_e32 v5, vcc_lo, s1, v1, vcc_lo
	v_lshlrev_b64 v[0:1], 4, v[6:7]
	s_delay_alu instid0(VALU_DEP_4) | instskip(SKIP_2) | instid1(VALU_DEP_3)
	v_add_co_u32 v2, vcc_lo, v9, v2
	v_add_co_ci_u32_e32 v3, vcc_lo, v11, v3, vcc_lo
	s_mov_b32 s0, 0
	v_add_co_u32 v8, vcc_lo, v4, v0
	s_delay_alu instid0(VALU_DEP_4)
	v_add_co_ci_u32_e32 v9, vcc_lo, v5, v1, vcc_lo
	global_load_b128 v[0:3], v[2:3], off
	global_load_b64 v[6:7], v[8:9], off
.LBB2_6:                                ; =>This Inner Loop Header: Depth=1
	s_waitcnt vmcnt(0)
	v_add_f64 v[4:5], v[6:7], v[0:1]
	global_atomic_cmpswap_b64 v[4:5], v[8:9], v[4:7], off glc
	s_waitcnt vmcnt(0)
	v_cmp_eq_u64_e32 vcc_lo, v[4:5], v[6:7]
	v_dual_mov_b32 v7, v5 :: v_dual_mov_b32 v6, v4
	s_or_b32 s0, vcc_lo, s0
	s_delay_alu instid0(SALU_CYCLE_1)
	s_and_not1_b32 exec_lo, exec_lo, s0
	s_cbranch_execnz .LBB2_6
; %bb.7:
	s_or_b32 exec_lo, exec_lo, s0
	global_load_b64 v[6:7], v[8:9], off offset:8
	s_mov_b32 s0, 0
.LBB2_8:                                ; =>This Inner Loop Header: Depth=1
	s_waitcnt vmcnt(0)
	v_add_f64 v[4:5], v[6:7], v[2:3]
	global_atomic_cmpswap_b64 v[0:1], v[8:9], v[4:7], off offset:8 glc
	s_waitcnt vmcnt(0)
	v_cmp_eq_u64_e32 vcc_lo, v[0:1], v[6:7]
	v_dual_mov_b32 v7, v1 :: v_dual_mov_b32 v6, v0
	s_or_b32 s0, vcc_lo, s0
	s_delay_alu instid0(SALU_CYCLE_1)
	s_and_not1_b32 exec_lo, exec_lo, s0
	s_cbranch_execnz .LBB2_8
.LBB2_9:
	s_endpgm
	.section	.rodata,"a",@progbits
	.p2align	6, 0x0
	.amdhsa_kernel _ZN2at6native12_GLOBAL__N_131replication_pad_backward_kernelIN3c107complexIdEEEEvN5torch10headeronly6detail27GenericPackedTensorAccessorINS8_14TensorAccessorINS3_8ArrayRefIlEET_Lm3ENS7_16DefaultPtrTraitsElEENS_6detail16IndexBoundsCheckILm4ElEESD_Lm4ESE_lEENS9_INSA_ISC_KSD_Lm3ESE_lEESI_SK_Lm4ESE_lEEiiii
		.amdhsa_group_segment_fixed_size 0
		.amdhsa_private_segment_fixed_size 0
		.amdhsa_kernarg_size 416
		.amdhsa_user_sgpr_count 13
		.amdhsa_user_sgpr_dispatch_ptr 0
		.amdhsa_user_sgpr_queue_ptr 0
		.amdhsa_user_sgpr_kernarg_segment_ptr 1
		.amdhsa_user_sgpr_dispatch_id 0
		.amdhsa_user_sgpr_private_segment_size 0
		.amdhsa_wavefront_size32 1
		.amdhsa_uses_dynamic_stack 0
		.amdhsa_enable_private_segment 0
		.amdhsa_system_sgpr_workgroup_id_x 1
		.amdhsa_system_sgpr_workgroup_id_y 1
		.amdhsa_system_sgpr_workgroup_id_z 1
		.amdhsa_system_sgpr_workgroup_info 0
		.amdhsa_system_vgpr_workitem_id 0
		.amdhsa_next_free_vgpr 14
		.amdhsa_next_free_sgpr 31
		.amdhsa_reserve_vcc 1
		.amdhsa_float_round_mode_32 0
		.amdhsa_float_round_mode_16_64 0
		.amdhsa_float_denorm_mode_32 3
		.amdhsa_float_denorm_mode_16_64 3
		.amdhsa_dx10_clamp 1
		.amdhsa_ieee_mode 1
		.amdhsa_fp16_overflow 0
		.amdhsa_workgroup_processor_mode 1
		.amdhsa_memory_ordered 1
		.amdhsa_forward_progress 0
		.amdhsa_shared_vgpr_count 0
		.amdhsa_exception_fp_ieee_invalid_op 0
		.amdhsa_exception_fp_denorm_src 0
		.amdhsa_exception_fp_ieee_div_zero 0
		.amdhsa_exception_fp_ieee_overflow 0
		.amdhsa_exception_fp_ieee_underflow 0
		.amdhsa_exception_fp_ieee_inexact 0
		.amdhsa_exception_int_div_zero 0
	.end_amdhsa_kernel
	.section	.text._ZN2at6native12_GLOBAL__N_131replication_pad_backward_kernelIN3c107complexIdEEEEvN5torch10headeronly6detail27GenericPackedTensorAccessorINS8_14TensorAccessorINS3_8ArrayRefIlEET_Lm3ENS7_16DefaultPtrTraitsElEENS_6detail16IndexBoundsCheckILm4ElEESD_Lm4ESE_lEENS9_INSA_ISC_KSD_Lm3ESE_lEESI_SK_Lm4ESE_lEEiiii,"axG",@progbits,_ZN2at6native12_GLOBAL__N_131replication_pad_backward_kernelIN3c107complexIdEEEEvN5torch10headeronly6detail27GenericPackedTensorAccessorINS8_14TensorAccessorINS3_8ArrayRefIlEET_Lm3ENS7_16DefaultPtrTraitsElEENS_6detail16IndexBoundsCheckILm4ElEESD_Lm4ESE_lEENS9_INSA_ISC_KSD_Lm3ESE_lEESI_SK_Lm4ESE_lEEiiii,comdat
.Lfunc_end2:
	.size	_ZN2at6native12_GLOBAL__N_131replication_pad_backward_kernelIN3c107complexIdEEEEvN5torch10headeronly6detail27GenericPackedTensorAccessorINS8_14TensorAccessorINS3_8ArrayRefIlEET_Lm3ENS7_16DefaultPtrTraitsElEENS_6detail16IndexBoundsCheckILm4ElEESD_Lm4ESE_lEENS9_INSA_ISC_KSD_Lm3ESE_lEESI_SK_Lm4ESE_lEEiiii, .Lfunc_end2-_ZN2at6native12_GLOBAL__N_131replication_pad_backward_kernelIN3c107complexIdEEEEvN5torch10headeronly6detail27GenericPackedTensorAccessorINS8_14TensorAccessorINS3_8ArrayRefIlEET_Lm3ENS7_16DefaultPtrTraitsElEENS_6detail16IndexBoundsCheckILm4ElEESD_Lm4ESE_lEENS9_INSA_ISC_KSD_Lm3ESE_lEESI_SK_Lm4ESE_lEEiiii
                                        ; -- End function
	.section	.AMDGPU.csdata,"",@progbits
; Kernel info:
; codeLenInByte = 1812
; NumSgprs: 33
; NumVgprs: 14
; ScratchSize: 0
; MemoryBound: 0
; FloatMode: 240
; IeeeMode: 1
; LDSByteSize: 0 bytes/workgroup (compile time only)
; SGPRBlocks: 4
; VGPRBlocks: 1
; NumSGPRsForWavesPerEU: 33
; NumVGPRsForWavesPerEU: 14
; Occupancy: 16
; WaveLimiterHint : 1
; COMPUTE_PGM_RSRC2:SCRATCH_EN: 0
; COMPUTE_PGM_RSRC2:USER_SGPR: 13
; COMPUTE_PGM_RSRC2:TRAP_HANDLER: 0
; COMPUTE_PGM_RSRC2:TGID_X_EN: 1
; COMPUTE_PGM_RSRC2:TGID_Y_EN: 1
; COMPUTE_PGM_RSRC2:TGID_Z_EN: 1
; COMPUTE_PGM_RSRC2:TIDIG_COMP_CNT: 0
	.section	.text._ZN2at6native12_GLOBAL__N_131replication_pad_backward_kernelIN3c107complexIfEEEEvN5torch10headeronly6detail27GenericPackedTensorAccessorINS8_14TensorAccessorINS3_8ArrayRefIlEET_Lm3ENS7_16DefaultPtrTraitsElEENS_6detail16IndexBoundsCheckILm4ElEESD_Lm4ESE_lEENS9_INSA_ISC_KSD_Lm3ESE_lEESI_SK_Lm4ESE_lEEiiii,"axG",@progbits,_ZN2at6native12_GLOBAL__N_131replication_pad_backward_kernelIN3c107complexIfEEEEvN5torch10headeronly6detail27GenericPackedTensorAccessorINS8_14TensorAccessorINS3_8ArrayRefIlEET_Lm3ENS7_16DefaultPtrTraitsElEENS_6detail16IndexBoundsCheckILm4ElEESD_Lm4ESE_lEENS9_INSA_ISC_KSD_Lm3ESE_lEESI_SK_Lm4ESE_lEEiiii,comdat
	.globl	_ZN2at6native12_GLOBAL__N_131replication_pad_backward_kernelIN3c107complexIfEEEEvN5torch10headeronly6detail27GenericPackedTensorAccessorINS8_14TensorAccessorINS3_8ArrayRefIlEET_Lm3ENS7_16DefaultPtrTraitsElEENS_6detail16IndexBoundsCheckILm4ElEESD_Lm4ESE_lEENS9_INSA_ISC_KSD_Lm3ESE_lEESI_SK_Lm4ESE_lEEiiii ; -- Begin function _ZN2at6native12_GLOBAL__N_131replication_pad_backward_kernelIN3c107complexIfEEEEvN5torch10headeronly6detail27GenericPackedTensorAccessorINS8_14TensorAccessorINS3_8ArrayRefIlEET_Lm3ENS7_16DefaultPtrTraitsElEENS_6detail16IndexBoundsCheckILm4ElEESD_Lm4ESE_lEENS9_INSA_ISC_KSD_Lm3ESE_lEESI_SK_Lm4ESE_lEEiiii
	.p2align	8
	.type	_ZN2at6native12_GLOBAL__N_131replication_pad_backward_kernelIN3c107complexIfEEEEvN5torch10headeronly6detail27GenericPackedTensorAccessorINS8_14TensorAccessorINS3_8ArrayRefIlEET_Lm3ENS7_16DefaultPtrTraitsElEENS_6detail16IndexBoundsCheckILm4ElEESD_Lm4ESE_lEENS9_INSA_ISC_KSD_Lm3ESE_lEESI_SK_Lm4ESE_lEEiiii,@function
_ZN2at6native12_GLOBAL__N_131replication_pad_backward_kernelIN3c107complexIfEEEEvN5torch10headeronly6detail27GenericPackedTensorAccessorINS8_14TensorAccessorINS3_8ArrayRefIlEET_Lm3ENS7_16DefaultPtrTraitsElEENS_6detail16IndexBoundsCheckILm4ElEESD_Lm4ESE_lEENS9_INSA_ISC_KSD_Lm3ESE_lEESI_SK_Lm4ESE_lEEiiii: ; @_ZN2at6native12_GLOBAL__N_131replication_pad_backward_kernelIN3c107complexIfEEEEvN5torch10headeronly6detail27GenericPackedTensorAccessorINS8_14TensorAccessorINS3_8ArrayRefIlEET_Lm3ENS7_16DefaultPtrTraitsElEENS_6detail16IndexBoundsCheckILm4ElEESD_Lm4ESE_lEENS9_INSA_ISC_KSD_Lm3ESE_lEESI_SK_Lm4ESE_lEEiiii
; %bb.0:
	s_clause 0x1
	s_load_b32 s2, s[0:1], 0xac
	s_load_b128 s[4:7], s[0:1], 0x60
	s_waitcnt lgkmcnt(0)
	s_and_b32 s2, s2, 0xffff
	s_mul_hi_u32 s3, s6, s4
	v_mad_u64_u32 v[1:2], null, s13, s2, v[0:1]
	s_mul_i32 s2, s6, s5
	s_delay_alu instid0(SALU_CYCLE_1) | instskip(SKIP_1) | instid1(SALU_CYCLE_1)
	s_add_i32 s2, s3, s2
	s_mul_i32 s3, s7, s4
	s_add_i32 s3, s2, s3
	s_delay_alu instid0(VALU_DEP_1)
	v_ashrrev_i32_e32 v2, 31, v1
	s_mul_i32 s2, s6, s4
	s_delay_alu instid0(VALU_DEP_1) | instid1(SALU_CYCLE_1)
	v_cmp_gt_i64_e32 vcc_lo, s[2:3], v[1:2]
	s_and_saveexec_b32 s2, vcc_lo
	s_cbranch_execz .LBB3_9
; %bb.1:
	v_or_b32_e32 v4, s7, v2
	v_mov_b32_e32 v3, 0
	s_delay_alu instid0(VALU_DEP_1) | instskip(SKIP_1) | instid1(SALU_CYCLE_1)
	v_cmp_ne_u64_e32 vcc_lo, 0, v[3:4]
                                        ; implicit-def: $vgpr3_vgpr4
	s_and_saveexec_b32 s2, vcc_lo
	s_xor_b32 s3, exec_lo, s2
	s_cbranch_execz .LBB3_3
; %bb.2:
	s_ashr_i32 s4, s7, 31
	s_delay_alu instid0(SALU_CYCLE_1) | instskip(SKIP_2) | instid1(SALU_CYCLE_1)
	s_add_u32 s8, s6, s4
	s_mov_b32 s5, s4
	s_addc_u32 s9, s7, s4
	s_xor_b64 s[8:9], s[8:9], s[4:5]
	s_delay_alu instid0(SALU_CYCLE_1) | instskip(SKIP_3) | instid1(VALU_DEP_1)
	v_cvt_f32_u32_e32 v0, s8
	v_cvt_f32_u32_e32 v3, s9
	s_sub_u32 s2, 0, s8
	s_subb_u32 s5, 0, s9
	v_fmamk_f32 v0, v3, 0x4f800000, v0
	s_delay_alu instid0(VALU_DEP_1) | instskip(SKIP_2) | instid1(VALU_DEP_1)
	v_rcp_f32_e32 v0, v0
	s_waitcnt_depctr 0xfff
	v_mul_f32_e32 v0, 0x5f7ffffc, v0
	v_mul_f32_e32 v3, 0x2f800000, v0
	s_delay_alu instid0(VALU_DEP_1) | instskip(NEXT) | instid1(VALU_DEP_1)
	v_trunc_f32_e32 v3, v3
	v_fmamk_f32 v0, v3, 0xcf800000, v0
	v_cvt_u32_f32_e32 v3, v3
	s_delay_alu instid0(VALU_DEP_2) | instskip(NEXT) | instid1(VALU_DEP_2)
	v_cvt_u32_f32_e32 v0, v0
	v_mul_lo_u32 v4, s2, v3
	s_delay_alu instid0(VALU_DEP_2) | instskip(SKIP_1) | instid1(VALU_DEP_2)
	v_mul_hi_u32 v5, s2, v0
	v_mul_lo_u32 v6, s5, v0
	v_add_nc_u32_e32 v4, v5, v4
	v_mul_lo_u32 v5, s2, v0
	s_delay_alu instid0(VALU_DEP_2) | instskip(NEXT) | instid1(VALU_DEP_2)
	v_add_nc_u32_e32 v4, v4, v6
	v_mul_hi_u32 v6, v0, v5
	s_delay_alu instid0(VALU_DEP_2)
	v_mul_lo_u32 v7, v0, v4
	v_mul_hi_u32 v8, v0, v4
	v_mul_hi_u32 v9, v3, v5
	v_mul_lo_u32 v5, v3, v5
	v_mul_hi_u32 v10, v3, v4
	v_mul_lo_u32 v4, v3, v4
	v_add_co_u32 v6, vcc_lo, v6, v7
	v_add_co_ci_u32_e32 v7, vcc_lo, 0, v8, vcc_lo
	s_delay_alu instid0(VALU_DEP_2) | instskip(NEXT) | instid1(VALU_DEP_2)
	v_add_co_u32 v5, vcc_lo, v6, v5
	v_add_co_ci_u32_e32 v5, vcc_lo, v7, v9, vcc_lo
	v_add_co_ci_u32_e32 v6, vcc_lo, 0, v10, vcc_lo
	v_ashrrev_i32_e32 v9, 31, v2
	s_delay_alu instid0(VALU_DEP_3) | instskip(NEXT) | instid1(VALU_DEP_3)
	v_add_co_u32 v4, vcc_lo, v5, v4
	v_add_co_ci_u32_e32 v5, vcc_lo, 0, v6, vcc_lo
	s_delay_alu instid0(VALU_DEP_2) | instskip(NEXT) | instid1(VALU_DEP_2)
	v_add_co_u32 v0, vcc_lo, v0, v4
	v_add_co_ci_u32_e32 v3, vcc_lo, v3, v5, vcc_lo
	s_delay_alu instid0(VALU_DEP_2) | instskip(SKIP_1) | instid1(VALU_DEP_3)
	v_mul_hi_u32 v4, s2, v0
	v_mul_lo_u32 v6, s5, v0
	v_mul_lo_u32 v5, s2, v3
	s_delay_alu instid0(VALU_DEP_1) | instskip(SKIP_1) | instid1(VALU_DEP_2)
	v_add_nc_u32_e32 v4, v4, v5
	v_mul_lo_u32 v5, s2, v0
	v_add_nc_u32_e32 v4, v4, v6
	s_delay_alu instid0(VALU_DEP_2) | instskip(NEXT) | instid1(VALU_DEP_2)
	v_mul_hi_u32 v6, v0, v5
	v_mul_lo_u32 v7, v0, v4
	v_mul_hi_u32 v8, v0, v4
	v_mul_hi_u32 v10, v3, v5
	v_mul_lo_u32 v5, v3, v5
	v_mul_hi_u32 v11, v3, v4
	v_mul_lo_u32 v4, v3, v4
	v_add_co_u32 v6, vcc_lo, v6, v7
	v_add_co_ci_u32_e32 v7, vcc_lo, 0, v8, vcc_lo
	s_delay_alu instid0(VALU_DEP_2) | instskip(NEXT) | instid1(VALU_DEP_2)
	v_add_co_u32 v5, vcc_lo, v6, v5
	v_add_co_ci_u32_e32 v5, vcc_lo, v7, v10, vcc_lo
	v_add_co_ci_u32_e32 v6, vcc_lo, 0, v11, vcc_lo
	v_add_co_u32 v7, vcc_lo, v1, v9
	v_add_co_ci_u32_e32 v8, vcc_lo, v2, v9, vcc_lo
	s_delay_alu instid0(VALU_DEP_4) | instskip(NEXT) | instid1(VALU_DEP_4)
	v_add_co_u32 v4, vcc_lo, v5, v4
	v_add_co_ci_u32_e32 v5, vcc_lo, 0, v6, vcc_lo
	s_delay_alu instid0(VALU_DEP_4) | instskip(NEXT) | instid1(VALU_DEP_3)
	v_xor_b32_e32 v10, v7, v9
	v_add_co_u32 v0, vcc_lo, v0, v4
	s_delay_alu instid0(VALU_DEP_3) | instskip(SKIP_1) | instid1(VALU_DEP_3)
	v_add_co_ci_u32_e32 v11, vcc_lo, v3, v5, vcc_lo
	v_xor_b32_e32 v12, v8, v9
	v_mul_hi_u32 v13, v10, v0
	s_delay_alu instid0(VALU_DEP_3) | instskip(NEXT) | instid1(VALU_DEP_3)
	v_mad_u64_u32 v[3:4], null, v10, v11, 0
	v_mad_u64_u32 v[5:6], null, v12, v0, 0
	;; [unrolled: 1-line block ×3, first 2 shown]
	s_delay_alu instid0(VALU_DEP_3) | instskip(NEXT) | instid1(VALU_DEP_4)
	v_add_co_u32 v0, vcc_lo, v13, v3
	v_add_co_ci_u32_e32 v3, vcc_lo, 0, v4, vcc_lo
	s_delay_alu instid0(VALU_DEP_2) | instskip(NEXT) | instid1(VALU_DEP_2)
	v_add_co_u32 v0, vcc_lo, v0, v5
	v_add_co_ci_u32_e32 v0, vcc_lo, v3, v6, vcc_lo
	v_add_co_ci_u32_e32 v3, vcc_lo, 0, v8, vcc_lo
	s_delay_alu instid0(VALU_DEP_2) | instskip(NEXT) | instid1(VALU_DEP_2)
	v_add_co_u32 v0, vcc_lo, v0, v7
	v_add_co_ci_u32_e32 v5, vcc_lo, 0, v3, vcc_lo
	s_delay_alu instid0(VALU_DEP_2) | instskip(SKIP_1) | instid1(VALU_DEP_3)
	v_mul_lo_u32 v6, s9, v0
	v_mad_u64_u32 v[3:4], null, s8, v0, 0
	v_mul_lo_u32 v7, s8, v5
	s_delay_alu instid0(VALU_DEP_2) | instskip(NEXT) | instid1(VALU_DEP_2)
	v_sub_co_u32 v3, vcc_lo, v10, v3
	v_add3_u32 v4, v4, v7, v6
	s_delay_alu instid0(VALU_DEP_1) | instskip(NEXT) | instid1(VALU_DEP_1)
	v_sub_nc_u32_e32 v6, v12, v4
	v_subrev_co_ci_u32_e64 v6, s2, s9, v6, vcc_lo
	v_add_co_u32 v7, s2, v0, 2
	s_delay_alu instid0(VALU_DEP_1) | instskip(SKIP_3) | instid1(VALU_DEP_3)
	v_add_co_ci_u32_e64 v8, s2, 0, v5, s2
	v_sub_co_u32 v10, s2, v3, s8
	v_sub_co_ci_u32_e32 v4, vcc_lo, v12, v4, vcc_lo
	v_subrev_co_ci_u32_e64 v6, s2, 0, v6, s2
	v_cmp_le_u32_e32 vcc_lo, s8, v10
	s_delay_alu instid0(VALU_DEP_3) | instskip(SKIP_1) | instid1(VALU_DEP_4)
	v_cmp_eq_u32_e64 s2, s9, v4
	v_cndmask_b32_e64 v10, 0, -1, vcc_lo
	v_cmp_le_u32_e32 vcc_lo, s9, v6
	v_cndmask_b32_e64 v11, 0, -1, vcc_lo
	v_cmp_le_u32_e32 vcc_lo, s8, v3
	;; [unrolled: 2-line block ×3, first 2 shown]
	v_cndmask_b32_e64 v12, 0, -1, vcc_lo
	v_cmp_eq_u32_e32 vcc_lo, s9, v6
	s_delay_alu instid0(VALU_DEP_2) | instskip(SKIP_3) | instid1(VALU_DEP_3)
	v_cndmask_b32_e64 v3, v12, v3, s2
	v_cndmask_b32_e32 v6, v11, v10, vcc_lo
	v_add_co_u32 v10, vcc_lo, v0, 1
	v_add_co_ci_u32_e32 v11, vcc_lo, 0, v5, vcc_lo
	v_cmp_ne_u32_e32 vcc_lo, 0, v6
	s_delay_alu instid0(VALU_DEP_2) | instskip(NEXT) | instid1(VALU_DEP_4)
	v_cndmask_b32_e32 v4, v11, v8, vcc_lo
	v_cndmask_b32_e32 v6, v10, v7, vcc_lo
	v_cmp_ne_u32_e32 vcc_lo, 0, v3
	v_xor_b32_e32 v7, s4, v9
	s_delay_alu instid0(VALU_DEP_3) | instskip(NEXT) | instid1(VALU_DEP_1)
	v_dual_cndmask_b32 v0, v0, v6 :: v_dual_cndmask_b32 v3, v5, v4
	v_xor_b32_e32 v0, v0, v7
	s_delay_alu instid0(VALU_DEP_2) | instskip(NEXT) | instid1(VALU_DEP_2)
	v_xor_b32_e32 v4, v3, v7
	v_sub_co_u32 v3, vcc_lo, v0, v7
	s_delay_alu instid0(VALU_DEP_2)
	v_sub_co_ci_u32_e32 v4, vcc_lo, v4, v7, vcc_lo
.LBB3_3:
	s_and_not1_saveexec_b32 s2, s3
	s_cbranch_execz .LBB3_5
; %bb.4:
	v_cvt_f32_u32_e32 v0, s6
	s_sub_i32 s3, 0, s6
	s_delay_alu instid0(VALU_DEP_1) | instskip(SKIP_2) | instid1(VALU_DEP_1)
	v_rcp_iflag_f32_e32 v0, v0
	s_waitcnt_depctr 0xfff
	v_mul_f32_e32 v0, 0x4f7ffffe, v0
	v_cvt_u32_f32_e32 v0, v0
	s_delay_alu instid0(VALU_DEP_1) | instskip(NEXT) | instid1(VALU_DEP_1)
	v_mul_lo_u32 v3, s3, v0
	v_mul_hi_u32 v3, v0, v3
	s_delay_alu instid0(VALU_DEP_1) | instskip(NEXT) | instid1(VALU_DEP_1)
	v_add_nc_u32_e32 v0, v0, v3
	v_mul_hi_u32 v0, v1, v0
	s_delay_alu instid0(VALU_DEP_1) | instskip(SKIP_1) | instid1(VALU_DEP_2)
	v_mul_lo_u32 v3, v0, s6
	v_add_nc_u32_e32 v4, 1, v0
	v_sub_nc_u32_e32 v3, v1, v3
	s_delay_alu instid0(VALU_DEP_1) | instskip(SKIP_1) | instid1(VALU_DEP_2)
	v_subrev_nc_u32_e32 v5, s6, v3
	v_cmp_le_u32_e32 vcc_lo, s6, v3
	v_dual_cndmask_b32 v3, v3, v5 :: v_dual_cndmask_b32 v0, v0, v4
	s_delay_alu instid0(VALU_DEP_1) | instskip(NEXT) | instid1(VALU_DEP_2)
	v_cmp_le_u32_e32 vcc_lo, s6, v3
	v_add_nc_u32_e32 v4, 1, v0
	s_delay_alu instid0(VALU_DEP_1)
	v_dual_cndmask_b32 v3, v0, v4 :: v_dual_mov_b32 v4, 0
.LBB3_5:
	s_or_b32 exec_lo, exec_lo, s2
	s_load_b128 s[24:27], s[0:1], 0x90
	s_delay_alu instid0(VALU_DEP_1) | instskip(NEXT) | instid1(VALU_DEP_2)
	v_mul_lo_u32 v0, v4, s6
	v_mul_lo_u32 v6, v3, s7
	v_mad_u64_u32 v[4:5], null, v3, s6, 0
	s_clause 0x2
	s_load_b256 s[4:11], s[0:1], 0x18
	s_load_b256 s[16:23], s[0:1], 0x70
	s_load_b64 s[12:13], s[0:1], 0x0
	s_delay_alu instid0(VALU_DEP_1) | instskip(NEXT) | instid1(VALU_DEP_2)
	v_sub_co_u32 v4, vcc_lo, v1, v4
	v_add3_u32 v0, v5, v6, v0
	s_delay_alu instid0(VALU_DEP_1)
	v_sub_co_ci_u32_e32 v2, vcc_lo, v2, v0, vcc_lo
	s_waitcnt lgkmcnt(0)
	s_add_i32 s7, s15, s27
	s_add_i32 s26, s14, s26
	s_load_b64 s[14:15], s[0:1], 0x48
	s_sub_i32 s2, 0, s25
	s_add_i32 s6, s25, s6
	s_ashr_i32 s30, s7, 31
	s_add_i32 s6, s6, -1
	s_sub_i32 s3, 0, s24
	s_max_i32 s5, s25, 0
	s_max_i32 s28, s2, 0
	v_maxmin_i32 v5, s25, v4, s6
	s_mul_i32 s6, s16, s30
	s_mul_hi_u32 s25, s16, s7
	s_max_i32 s29, s3, 0
	s_load_b128 s[0:3], s[0:1], 0x38
	s_sub_i32 s28, s28, s5
	s_add_i32 s5, s25, s6
	s_mul_i32 s6, s17, s7
	s_add_i32 s17, s24, s4
	s_max_i32 s27, s24, 0
	s_add_i32 s17, s17, -1
	s_add_i32 s5, s5, s6
	v_maxmin_i32 v6, s24, v3, s17
	s_mul_i32 s4, s16, s7
	v_ashrrev_i32_e32 v0, 31, v3
	s_lshl_b64 s[4:5], s[4:5], 3
	s_sub_i32 s6, s29, s27
	s_waitcnt lgkmcnt(0)
	s_add_u32 s14, s14, s4
	v_add_nc_u32_e32 v6, s6, v6
	s_addc_u32 s15, s15, s5
	s_ashr_i32 s16, s26, 31
	v_mul_lo_u32 v7, s21, v3
	v_mul_lo_u32 v8, s20, v0
	v_mad_u64_u32 v[0:1], null, s20, v3, 0
	s_mul_i32 s4, s18, s16
	s_mul_hi_u32 s5, s18, s26
	v_add_nc_u32_e32 v9, s28, v5
	s_add_i32 s4, s5, s4
	s_mul_i32 s5, s19, s26
	v_ashrrev_i32_e32 v5, 31, v6
	s_add_i32 s5, s4, s5
	s_mul_i32 s4, s18, s26
	v_add3_u32 v1, v1, v8, v7
	s_lshl_b64 s[4:5], s[4:5], 3
	v_mul_lo_u32 v7, s23, v4
	v_mul_lo_u32 v8, s22, v2
	v_mad_u64_u32 v[2:3], null, s22, v4, 0
	v_mul_lo_u32 v10, s0, v5
	v_mul_lo_u32 v11, s1, v6
	v_mad_u64_u32 v[4:5], null, s0, v6, 0
	s_add_u32 s6, s14, s4
	s_addc_u32 s14, s15, s5
	s_mul_i32 s4, s8, s30
	s_mul_hi_u32 s5, s8, s7
	v_ashrrev_i32_e32 v6, 31, v9
	s_add_i32 s4, s5, s4
	s_mul_i32 s5, s9, s7
	v_lshlrev_b64 v[0:1], 3, v[0:1]
	s_add_i32 s5, s4, s5
	s_mul_i32 s4, s8, s7
	v_add3_u32 v3, v3, v8, v7
	s_lshl_b64 s[4:5], s[4:5], 3
	v_add3_u32 v5, v5, v10, v11
	v_mul_lo_u32 v8, s2, v6
	v_mul_lo_u32 v10, s3, v9
	v_mad_u64_u32 v[6:7], null, s2, v9, 0
	s_mul_i32 s7, s10, s16
	s_mul_hi_u32 s8, s10, s26
	s_add_u32 s4, s12, s4
	s_addc_u32 s5, s13, s5
	s_add_i32 s0, s8, s7
	s_mul_i32 s1, s11, s26
	v_add_co_u32 v9, vcc_lo, s6, v0
	s_add_i32 s1, s0, s1
	s_mul_i32 s0, s10, s26
	v_add_co_ci_u32_e32 v11, vcc_lo, s14, v1, vcc_lo
	v_lshlrev_b64 v[0:1], 3, v[4:5]
	s_lshl_b64 s[0:1], s[0:1], 3
	v_add3_u32 v7, v7, v8, v10
	s_add_u32 s0, s4, s0
	v_lshlrev_b64 v[2:3], 3, v[2:3]
	s_addc_u32 s1, s5, s1
	v_add_co_u32 v4, vcc_lo, s0, v0
	v_add_co_ci_u32_e32 v5, vcc_lo, s1, v1, vcc_lo
	v_lshlrev_b64 v[0:1], 3, v[6:7]
	s_delay_alu instid0(VALU_DEP_4) | instskip(SKIP_2) | instid1(VALU_DEP_3)
	v_add_co_u32 v2, vcc_lo, v9, v2
	v_add_co_ci_u32_e32 v3, vcc_lo, v11, v3, vcc_lo
	s_mov_b32 s0, 0
	v_add_co_u32 v0, vcc_lo, v4, v0
	s_delay_alu instid0(VALU_DEP_4)
	v_add_co_ci_u32_e32 v1, vcc_lo, v5, v1, vcc_lo
	global_load_b64 v[2:3], v[2:3], off
	global_load_b32 v5, v[0:1], off
.LBB3_6:                                ; =>This Inner Loop Header: Depth=1
	s_waitcnt vmcnt(0)
	v_add_f32_e32 v4, v5, v2
	global_atomic_cmpswap_b32 v4, v[0:1], v[4:5], off glc
	s_waitcnt vmcnt(0)
	v_cmp_eq_u32_e32 vcc_lo, v4, v5
	v_mov_b32_e32 v5, v4
	s_or_b32 s0, vcc_lo, s0
	s_delay_alu instid0(SALU_CYCLE_1)
	s_and_not1_b32 exec_lo, exec_lo, s0
	s_cbranch_execnz .LBB3_6
; %bb.7:
	s_or_b32 exec_lo, exec_lo, s0
	global_load_b32 v5, v[0:1], off offset:4
	s_mov_b32 s0, 0
.LBB3_8:                                ; =>This Inner Loop Header: Depth=1
	s_waitcnt vmcnt(0)
	v_add_f32_e32 v4, v5, v3
	global_atomic_cmpswap_b32 v2, v[0:1], v[4:5], off offset:4 glc
	s_waitcnt vmcnt(0)
	v_cmp_eq_u32_e32 vcc_lo, v2, v5
	v_mov_b32_e32 v5, v2
	s_or_b32 s0, vcc_lo, s0
	s_delay_alu instid0(SALU_CYCLE_1)
	s_and_not1_b32 exec_lo, exec_lo, s0
	s_cbranch_execnz .LBB3_8
.LBB3_9:
	s_endpgm
	.section	.rodata,"a",@progbits
	.p2align	6, 0x0
	.amdhsa_kernel _ZN2at6native12_GLOBAL__N_131replication_pad_backward_kernelIN3c107complexIfEEEEvN5torch10headeronly6detail27GenericPackedTensorAccessorINS8_14TensorAccessorINS3_8ArrayRefIlEET_Lm3ENS7_16DefaultPtrTraitsElEENS_6detail16IndexBoundsCheckILm4ElEESD_Lm4ESE_lEENS9_INSA_ISC_KSD_Lm3ESE_lEESI_SK_Lm4ESE_lEEiiii
		.amdhsa_group_segment_fixed_size 0
		.amdhsa_private_segment_fixed_size 0
		.amdhsa_kernarg_size 416
		.amdhsa_user_sgpr_count 13
		.amdhsa_user_sgpr_dispatch_ptr 0
		.amdhsa_user_sgpr_queue_ptr 0
		.amdhsa_user_sgpr_kernarg_segment_ptr 1
		.amdhsa_user_sgpr_dispatch_id 0
		.amdhsa_user_sgpr_private_segment_size 0
		.amdhsa_wavefront_size32 1
		.amdhsa_uses_dynamic_stack 0
		.amdhsa_enable_private_segment 0
		.amdhsa_system_sgpr_workgroup_id_x 1
		.amdhsa_system_sgpr_workgroup_id_y 1
		.amdhsa_system_sgpr_workgroup_id_z 1
		.amdhsa_system_sgpr_workgroup_info 0
		.amdhsa_system_vgpr_workitem_id 0
		.amdhsa_next_free_vgpr 14
		.amdhsa_next_free_sgpr 31
		.amdhsa_reserve_vcc 1
		.amdhsa_float_round_mode_32 0
		.amdhsa_float_round_mode_16_64 0
		.amdhsa_float_denorm_mode_32 3
		.amdhsa_float_denorm_mode_16_64 3
		.amdhsa_dx10_clamp 1
		.amdhsa_ieee_mode 1
		.amdhsa_fp16_overflow 0
		.amdhsa_workgroup_processor_mode 1
		.amdhsa_memory_ordered 1
		.amdhsa_forward_progress 0
		.amdhsa_shared_vgpr_count 0
		.amdhsa_exception_fp_ieee_invalid_op 0
		.amdhsa_exception_fp_denorm_src 0
		.amdhsa_exception_fp_ieee_div_zero 0
		.amdhsa_exception_fp_ieee_overflow 0
		.amdhsa_exception_fp_ieee_underflow 0
		.amdhsa_exception_fp_ieee_inexact 0
		.amdhsa_exception_int_div_zero 0
	.end_amdhsa_kernel
	.section	.text._ZN2at6native12_GLOBAL__N_131replication_pad_backward_kernelIN3c107complexIfEEEEvN5torch10headeronly6detail27GenericPackedTensorAccessorINS8_14TensorAccessorINS3_8ArrayRefIlEET_Lm3ENS7_16DefaultPtrTraitsElEENS_6detail16IndexBoundsCheckILm4ElEESD_Lm4ESE_lEENS9_INSA_ISC_KSD_Lm3ESE_lEESI_SK_Lm4ESE_lEEiiii,"axG",@progbits,_ZN2at6native12_GLOBAL__N_131replication_pad_backward_kernelIN3c107complexIfEEEEvN5torch10headeronly6detail27GenericPackedTensorAccessorINS8_14TensorAccessorINS3_8ArrayRefIlEET_Lm3ENS7_16DefaultPtrTraitsElEENS_6detail16IndexBoundsCheckILm4ElEESD_Lm4ESE_lEENS9_INSA_ISC_KSD_Lm3ESE_lEESI_SK_Lm4ESE_lEEiiii,comdat
.Lfunc_end3:
	.size	_ZN2at6native12_GLOBAL__N_131replication_pad_backward_kernelIN3c107complexIfEEEEvN5torch10headeronly6detail27GenericPackedTensorAccessorINS8_14TensorAccessorINS3_8ArrayRefIlEET_Lm3ENS7_16DefaultPtrTraitsElEENS_6detail16IndexBoundsCheckILm4ElEESD_Lm4ESE_lEENS9_INSA_ISC_KSD_Lm3ESE_lEESI_SK_Lm4ESE_lEEiiii, .Lfunc_end3-_ZN2at6native12_GLOBAL__N_131replication_pad_backward_kernelIN3c107complexIfEEEEvN5torch10headeronly6detail27GenericPackedTensorAccessorINS8_14TensorAccessorINS3_8ArrayRefIlEET_Lm3ENS7_16DefaultPtrTraitsElEENS_6detail16IndexBoundsCheckILm4ElEESD_Lm4ESE_lEENS9_INSA_ISC_KSD_Lm3ESE_lEESI_SK_Lm4ESE_lEEiiii
                                        ; -- End function
	.section	.AMDGPU.csdata,"",@progbits
; Kernel info:
; codeLenInByte = 1796
; NumSgprs: 33
; NumVgprs: 14
; ScratchSize: 0
; MemoryBound: 0
; FloatMode: 240
; IeeeMode: 1
; LDSByteSize: 0 bytes/workgroup (compile time only)
; SGPRBlocks: 4
; VGPRBlocks: 1
; NumSGPRsForWavesPerEU: 33
; NumVGPRsForWavesPerEU: 14
; Occupancy: 16
; WaveLimiterHint : 1
; COMPUTE_PGM_RSRC2:SCRATCH_EN: 0
; COMPUTE_PGM_RSRC2:USER_SGPR: 13
; COMPUTE_PGM_RSRC2:TRAP_HANDLER: 0
; COMPUTE_PGM_RSRC2:TGID_X_EN: 1
; COMPUTE_PGM_RSRC2:TGID_Y_EN: 1
; COMPUTE_PGM_RSRC2:TGID_Z_EN: 1
; COMPUTE_PGM_RSRC2:TIDIG_COMP_CNT: 0
	.section	.text._ZN2at6native12_GLOBAL__N_131replication_pad_backward_kernelIN3c104HalfEEEvN5torch10headeronly6detail27GenericPackedTensorAccessorINS7_14TensorAccessorINS3_8ArrayRefIlEET_Lm3ENS6_16DefaultPtrTraitsElEENS_6detail16IndexBoundsCheckILm4ElEESC_Lm4ESD_lEENS8_INS9_ISB_KSC_Lm3ESD_lEESH_SJ_Lm4ESD_lEEiiii,"axG",@progbits,_ZN2at6native12_GLOBAL__N_131replication_pad_backward_kernelIN3c104HalfEEEvN5torch10headeronly6detail27GenericPackedTensorAccessorINS7_14TensorAccessorINS3_8ArrayRefIlEET_Lm3ENS6_16DefaultPtrTraitsElEENS_6detail16IndexBoundsCheckILm4ElEESC_Lm4ESD_lEENS8_INS9_ISB_KSC_Lm3ESD_lEESH_SJ_Lm4ESD_lEEiiii,comdat
	.globl	_ZN2at6native12_GLOBAL__N_131replication_pad_backward_kernelIN3c104HalfEEEvN5torch10headeronly6detail27GenericPackedTensorAccessorINS7_14TensorAccessorINS3_8ArrayRefIlEET_Lm3ENS6_16DefaultPtrTraitsElEENS_6detail16IndexBoundsCheckILm4ElEESC_Lm4ESD_lEENS8_INS9_ISB_KSC_Lm3ESD_lEESH_SJ_Lm4ESD_lEEiiii ; -- Begin function _ZN2at6native12_GLOBAL__N_131replication_pad_backward_kernelIN3c104HalfEEEvN5torch10headeronly6detail27GenericPackedTensorAccessorINS7_14TensorAccessorINS3_8ArrayRefIlEET_Lm3ENS6_16DefaultPtrTraitsElEENS_6detail16IndexBoundsCheckILm4ElEESC_Lm4ESD_lEENS8_INS9_ISB_KSC_Lm3ESD_lEESH_SJ_Lm4ESD_lEEiiii
	.p2align	8
	.type	_ZN2at6native12_GLOBAL__N_131replication_pad_backward_kernelIN3c104HalfEEEvN5torch10headeronly6detail27GenericPackedTensorAccessorINS7_14TensorAccessorINS3_8ArrayRefIlEET_Lm3ENS6_16DefaultPtrTraitsElEENS_6detail16IndexBoundsCheckILm4ElEESC_Lm4ESD_lEENS8_INS9_ISB_KSC_Lm3ESD_lEESH_SJ_Lm4ESD_lEEiiii,@function
_ZN2at6native12_GLOBAL__N_131replication_pad_backward_kernelIN3c104HalfEEEvN5torch10headeronly6detail27GenericPackedTensorAccessorINS7_14TensorAccessorINS3_8ArrayRefIlEET_Lm3ENS6_16DefaultPtrTraitsElEENS_6detail16IndexBoundsCheckILm4ElEESC_Lm4ESD_lEENS8_INS9_ISB_KSC_Lm3ESD_lEESH_SJ_Lm4ESD_lEEiiii: ; @_ZN2at6native12_GLOBAL__N_131replication_pad_backward_kernelIN3c104HalfEEEvN5torch10headeronly6detail27GenericPackedTensorAccessorINS7_14TensorAccessorINS3_8ArrayRefIlEET_Lm3ENS6_16DefaultPtrTraitsElEENS_6detail16IndexBoundsCheckILm4ElEESC_Lm4ESD_lEENS8_INS9_ISB_KSC_Lm3ESD_lEESH_SJ_Lm4ESD_lEEiiii
; %bb.0:
	s_clause 0x1
	s_load_b32 s2, s[0:1], 0xac
	s_load_b128 s[4:7], s[0:1], 0x60
	s_waitcnt lgkmcnt(0)
	s_and_b32 s2, s2, 0xffff
	s_mul_hi_u32 s3, s6, s4
	v_mad_u64_u32 v[1:2], null, s13, s2, v[0:1]
	s_mul_i32 s2, s6, s5
	s_delay_alu instid0(SALU_CYCLE_1) | instskip(SKIP_1) | instid1(SALU_CYCLE_1)
	s_add_i32 s2, s3, s2
	s_mul_i32 s3, s7, s4
	s_add_i32 s3, s2, s3
	s_delay_alu instid0(VALU_DEP_1)
	v_ashrrev_i32_e32 v2, 31, v1
	s_mul_i32 s2, s6, s4
	s_delay_alu instid0(VALU_DEP_1) | instid1(SALU_CYCLE_1)
	v_cmp_gt_i64_e32 vcc_lo, s[2:3], v[1:2]
	s_and_saveexec_b32 s2, vcc_lo
	s_cbranch_execz .LBB4_11
; %bb.1:
	v_or_b32_e32 v4, s7, v2
	v_mov_b32_e32 v3, 0
	s_delay_alu instid0(VALU_DEP_1) | instskip(SKIP_1) | instid1(SALU_CYCLE_1)
	v_cmp_ne_u64_e32 vcc_lo, 0, v[3:4]
                                        ; implicit-def: $vgpr3_vgpr4
	s_and_saveexec_b32 s2, vcc_lo
	s_xor_b32 s3, exec_lo, s2
	s_cbranch_execz .LBB4_3
; %bb.2:
	s_ashr_i32 s4, s7, 31
	s_delay_alu instid0(SALU_CYCLE_1) | instskip(SKIP_2) | instid1(SALU_CYCLE_1)
	s_add_u32 s8, s6, s4
	s_mov_b32 s5, s4
	s_addc_u32 s9, s7, s4
	s_xor_b64 s[8:9], s[8:9], s[4:5]
	s_delay_alu instid0(SALU_CYCLE_1) | instskip(SKIP_3) | instid1(VALU_DEP_1)
	v_cvt_f32_u32_e32 v0, s8
	v_cvt_f32_u32_e32 v3, s9
	s_sub_u32 s2, 0, s8
	s_subb_u32 s5, 0, s9
	v_fmamk_f32 v0, v3, 0x4f800000, v0
	s_delay_alu instid0(VALU_DEP_1) | instskip(SKIP_2) | instid1(VALU_DEP_1)
	v_rcp_f32_e32 v0, v0
	s_waitcnt_depctr 0xfff
	v_mul_f32_e32 v0, 0x5f7ffffc, v0
	v_mul_f32_e32 v3, 0x2f800000, v0
	s_delay_alu instid0(VALU_DEP_1) | instskip(NEXT) | instid1(VALU_DEP_1)
	v_trunc_f32_e32 v3, v3
	v_fmamk_f32 v0, v3, 0xcf800000, v0
	v_cvt_u32_f32_e32 v3, v3
	s_delay_alu instid0(VALU_DEP_2) | instskip(NEXT) | instid1(VALU_DEP_2)
	v_cvt_u32_f32_e32 v0, v0
	v_mul_lo_u32 v4, s2, v3
	s_delay_alu instid0(VALU_DEP_2) | instskip(SKIP_1) | instid1(VALU_DEP_2)
	v_mul_hi_u32 v5, s2, v0
	v_mul_lo_u32 v6, s5, v0
	v_add_nc_u32_e32 v4, v5, v4
	v_mul_lo_u32 v5, s2, v0
	s_delay_alu instid0(VALU_DEP_2) | instskip(NEXT) | instid1(VALU_DEP_2)
	v_add_nc_u32_e32 v4, v4, v6
	v_mul_hi_u32 v6, v0, v5
	s_delay_alu instid0(VALU_DEP_2)
	v_mul_lo_u32 v7, v0, v4
	v_mul_hi_u32 v8, v0, v4
	v_mul_hi_u32 v9, v3, v5
	v_mul_lo_u32 v5, v3, v5
	v_mul_hi_u32 v10, v3, v4
	v_mul_lo_u32 v4, v3, v4
	v_add_co_u32 v6, vcc_lo, v6, v7
	v_add_co_ci_u32_e32 v7, vcc_lo, 0, v8, vcc_lo
	s_delay_alu instid0(VALU_DEP_2) | instskip(NEXT) | instid1(VALU_DEP_2)
	v_add_co_u32 v5, vcc_lo, v6, v5
	v_add_co_ci_u32_e32 v5, vcc_lo, v7, v9, vcc_lo
	v_add_co_ci_u32_e32 v6, vcc_lo, 0, v10, vcc_lo
	v_ashrrev_i32_e32 v9, 31, v2
	s_delay_alu instid0(VALU_DEP_3) | instskip(NEXT) | instid1(VALU_DEP_3)
	v_add_co_u32 v4, vcc_lo, v5, v4
	v_add_co_ci_u32_e32 v5, vcc_lo, 0, v6, vcc_lo
	s_delay_alu instid0(VALU_DEP_2) | instskip(NEXT) | instid1(VALU_DEP_2)
	v_add_co_u32 v0, vcc_lo, v0, v4
	v_add_co_ci_u32_e32 v3, vcc_lo, v3, v5, vcc_lo
	s_delay_alu instid0(VALU_DEP_2) | instskip(SKIP_1) | instid1(VALU_DEP_3)
	v_mul_hi_u32 v4, s2, v0
	v_mul_lo_u32 v6, s5, v0
	v_mul_lo_u32 v5, s2, v3
	s_delay_alu instid0(VALU_DEP_1) | instskip(SKIP_1) | instid1(VALU_DEP_2)
	v_add_nc_u32_e32 v4, v4, v5
	v_mul_lo_u32 v5, s2, v0
	v_add_nc_u32_e32 v4, v4, v6
	s_delay_alu instid0(VALU_DEP_2) | instskip(NEXT) | instid1(VALU_DEP_2)
	v_mul_hi_u32 v6, v0, v5
	v_mul_lo_u32 v7, v0, v4
	v_mul_hi_u32 v8, v0, v4
	v_mul_hi_u32 v10, v3, v5
	v_mul_lo_u32 v5, v3, v5
	v_mul_hi_u32 v11, v3, v4
	v_mul_lo_u32 v4, v3, v4
	v_add_co_u32 v6, vcc_lo, v6, v7
	v_add_co_ci_u32_e32 v7, vcc_lo, 0, v8, vcc_lo
	s_delay_alu instid0(VALU_DEP_2) | instskip(NEXT) | instid1(VALU_DEP_2)
	v_add_co_u32 v5, vcc_lo, v6, v5
	v_add_co_ci_u32_e32 v5, vcc_lo, v7, v10, vcc_lo
	v_add_co_ci_u32_e32 v6, vcc_lo, 0, v11, vcc_lo
	v_add_co_u32 v7, vcc_lo, v1, v9
	v_add_co_ci_u32_e32 v8, vcc_lo, v2, v9, vcc_lo
	s_delay_alu instid0(VALU_DEP_4) | instskip(NEXT) | instid1(VALU_DEP_4)
	v_add_co_u32 v4, vcc_lo, v5, v4
	v_add_co_ci_u32_e32 v5, vcc_lo, 0, v6, vcc_lo
	s_delay_alu instid0(VALU_DEP_4) | instskip(NEXT) | instid1(VALU_DEP_3)
	v_xor_b32_e32 v10, v7, v9
	v_add_co_u32 v0, vcc_lo, v0, v4
	s_delay_alu instid0(VALU_DEP_3) | instskip(SKIP_1) | instid1(VALU_DEP_3)
	v_add_co_ci_u32_e32 v11, vcc_lo, v3, v5, vcc_lo
	v_xor_b32_e32 v12, v8, v9
	v_mul_hi_u32 v13, v10, v0
	s_delay_alu instid0(VALU_DEP_3) | instskip(NEXT) | instid1(VALU_DEP_3)
	v_mad_u64_u32 v[3:4], null, v10, v11, 0
	v_mad_u64_u32 v[5:6], null, v12, v0, 0
	;; [unrolled: 1-line block ×3, first 2 shown]
	s_delay_alu instid0(VALU_DEP_3) | instskip(NEXT) | instid1(VALU_DEP_4)
	v_add_co_u32 v0, vcc_lo, v13, v3
	v_add_co_ci_u32_e32 v3, vcc_lo, 0, v4, vcc_lo
	s_delay_alu instid0(VALU_DEP_2) | instskip(NEXT) | instid1(VALU_DEP_2)
	v_add_co_u32 v0, vcc_lo, v0, v5
	v_add_co_ci_u32_e32 v0, vcc_lo, v3, v6, vcc_lo
	v_add_co_ci_u32_e32 v3, vcc_lo, 0, v8, vcc_lo
	s_delay_alu instid0(VALU_DEP_2) | instskip(NEXT) | instid1(VALU_DEP_2)
	v_add_co_u32 v0, vcc_lo, v0, v7
	v_add_co_ci_u32_e32 v5, vcc_lo, 0, v3, vcc_lo
	s_delay_alu instid0(VALU_DEP_2) | instskip(SKIP_1) | instid1(VALU_DEP_3)
	v_mul_lo_u32 v6, s9, v0
	v_mad_u64_u32 v[3:4], null, s8, v0, 0
	v_mul_lo_u32 v7, s8, v5
	s_delay_alu instid0(VALU_DEP_2) | instskip(NEXT) | instid1(VALU_DEP_2)
	v_sub_co_u32 v3, vcc_lo, v10, v3
	v_add3_u32 v4, v4, v7, v6
	s_delay_alu instid0(VALU_DEP_1) | instskip(NEXT) | instid1(VALU_DEP_1)
	v_sub_nc_u32_e32 v6, v12, v4
	v_subrev_co_ci_u32_e64 v6, s2, s9, v6, vcc_lo
	v_add_co_u32 v7, s2, v0, 2
	s_delay_alu instid0(VALU_DEP_1) | instskip(SKIP_3) | instid1(VALU_DEP_3)
	v_add_co_ci_u32_e64 v8, s2, 0, v5, s2
	v_sub_co_u32 v10, s2, v3, s8
	v_sub_co_ci_u32_e32 v4, vcc_lo, v12, v4, vcc_lo
	v_subrev_co_ci_u32_e64 v6, s2, 0, v6, s2
	v_cmp_le_u32_e32 vcc_lo, s8, v10
	s_delay_alu instid0(VALU_DEP_3) | instskip(SKIP_1) | instid1(VALU_DEP_4)
	v_cmp_eq_u32_e64 s2, s9, v4
	v_cndmask_b32_e64 v10, 0, -1, vcc_lo
	v_cmp_le_u32_e32 vcc_lo, s9, v6
	v_cndmask_b32_e64 v11, 0, -1, vcc_lo
	v_cmp_le_u32_e32 vcc_lo, s8, v3
	;; [unrolled: 2-line block ×3, first 2 shown]
	v_cndmask_b32_e64 v12, 0, -1, vcc_lo
	v_cmp_eq_u32_e32 vcc_lo, s9, v6
	s_delay_alu instid0(VALU_DEP_2) | instskip(SKIP_3) | instid1(VALU_DEP_3)
	v_cndmask_b32_e64 v3, v12, v3, s2
	v_cndmask_b32_e32 v6, v11, v10, vcc_lo
	v_add_co_u32 v10, vcc_lo, v0, 1
	v_add_co_ci_u32_e32 v11, vcc_lo, 0, v5, vcc_lo
	v_cmp_ne_u32_e32 vcc_lo, 0, v6
	s_delay_alu instid0(VALU_DEP_2) | instskip(NEXT) | instid1(VALU_DEP_4)
	v_cndmask_b32_e32 v4, v11, v8, vcc_lo
	v_cndmask_b32_e32 v6, v10, v7, vcc_lo
	v_cmp_ne_u32_e32 vcc_lo, 0, v3
	v_xor_b32_e32 v7, s4, v9
	s_delay_alu instid0(VALU_DEP_3) | instskip(NEXT) | instid1(VALU_DEP_1)
	v_dual_cndmask_b32 v0, v0, v6 :: v_dual_cndmask_b32 v3, v5, v4
	v_xor_b32_e32 v0, v0, v7
	s_delay_alu instid0(VALU_DEP_2) | instskip(NEXT) | instid1(VALU_DEP_2)
	v_xor_b32_e32 v4, v3, v7
	v_sub_co_u32 v3, vcc_lo, v0, v7
	s_delay_alu instid0(VALU_DEP_2)
	v_sub_co_ci_u32_e32 v4, vcc_lo, v4, v7, vcc_lo
.LBB4_3:
	s_and_not1_saveexec_b32 s2, s3
	s_cbranch_execz .LBB4_5
; %bb.4:
	v_cvt_f32_u32_e32 v0, s6
	s_sub_i32 s3, 0, s6
	s_delay_alu instid0(VALU_DEP_1) | instskip(SKIP_2) | instid1(VALU_DEP_1)
	v_rcp_iflag_f32_e32 v0, v0
	s_waitcnt_depctr 0xfff
	v_mul_f32_e32 v0, 0x4f7ffffe, v0
	v_cvt_u32_f32_e32 v0, v0
	s_delay_alu instid0(VALU_DEP_1) | instskip(NEXT) | instid1(VALU_DEP_1)
	v_mul_lo_u32 v3, s3, v0
	v_mul_hi_u32 v3, v0, v3
	s_delay_alu instid0(VALU_DEP_1) | instskip(NEXT) | instid1(VALU_DEP_1)
	v_add_nc_u32_e32 v0, v0, v3
	v_mul_hi_u32 v0, v1, v0
	s_delay_alu instid0(VALU_DEP_1) | instskip(SKIP_1) | instid1(VALU_DEP_2)
	v_mul_lo_u32 v3, v0, s6
	v_add_nc_u32_e32 v4, 1, v0
	v_sub_nc_u32_e32 v3, v1, v3
	s_delay_alu instid0(VALU_DEP_1) | instskip(SKIP_1) | instid1(VALU_DEP_2)
	v_subrev_nc_u32_e32 v5, s6, v3
	v_cmp_le_u32_e32 vcc_lo, s6, v3
	v_dual_cndmask_b32 v3, v3, v5 :: v_dual_cndmask_b32 v0, v0, v4
	s_delay_alu instid0(VALU_DEP_1) | instskip(NEXT) | instid1(VALU_DEP_2)
	v_cmp_le_u32_e32 vcc_lo, s6, v3
	v_add_nc_u32_e32 v4, 1, v0
	s_delay_alu instid0(VALU_DEP_1)
	v_dual_cndmask_b32 v3, v0, v4 :: v_dual_mov_b32 v4, 0
.LBB4_5:
	s_or_b32 exec_lo, exec_lo, s2
	s_load_b128 s[28:31], s[0:1], 0x90
	s_delay_alu instid0(VALU_DEP_1) | instskip(NEXT) | instid1(VALU_DEP_2)
	v_mul_lo_u32 v0, v4, s6
	v_mul_lo_u32 v6, v3, s7
	v_mad_u64_u32 v[4:5], null, v3, s6, 0
	s_clause 0x4
	s_load_b256 s[4:11], s[0:1], 0x18
	s_load_b256 s[16:23], s[0:1], 0x70
	s_load_b64 s[2:3], s[0:1], 0x48
	s_load_b128 s[24:27], s[0:1], 0x38
	s_load_b64 s[0:1], s[0:1], 0x0
	s_delay_alu instid0(VALU_DEP_1) | instskip(SKIP_1) | instid1(VALU_DEP_2)
	v_add3_u32 v0, v5, v6, v0
	v_sub_co_u32 v6, vcc_lo, v1, v4
	v_sub_co_ci_u32_e32 v2, vcc_lo, v2, v0, vcc_lo
	v_ashrrev_i32_e32 v0, 31, v3
	s_waitcnt lgkmcnt(0)
	s_add_i32 s15, s15, s31
	s_add_i32 s14, s14, s30
	s_sub_i32 s5, 0, s29
	s_ashr_i32 s30, s15, 31
	s_max_i32 s12, s29, 0
	s_max_i32 s5, s5, 0
	s_mul_i32 s31, s16, s30
	s_mul_hi_u32 s33, s16, s15
	s_add_i32 s6, s29, s6
	s_sub_i32 s12, s5, s12
	s_add_i32 s5, s33, s31
	s_add_i32 s31, s28, s4
	s_add_i32 s6, s6, -1
	s_add_i32 s31, s31, -1
	s_sub_i32 s7, 0, s28
	s_mul_i32 s17, s17, s15
	v_maxmin_i32 v4, s29, v6, s6
	v_mul_lo_u32 v5, s21, v3
	v_mul_lo_u32 v7, s20, v0
	v_mad_u64_u32 v[0:1], null, s20, v3, 0
	v_maxmin_i32 v3, s28, v3, s31
	s_max_i32 s13, s28, 0
	s_max_i32 s7, s7, 0
	s_add_i32 s5, s5, s17
	s_mul_i32 s4, s16, s15
	s_sub_i32 s7, s7, s13
	s_lshl_b64 s[4:5], s[4:5], 1
	v_add_nc_u32_e32 v8, s12, v4
	s_add_u32 s4, s2, s4
	v_add_nc_u32_e32 v4, s7, v3
	s_addc_u32 s5, s3, s5
	s_ashr_i32 s13, s14, 31
	s_mul_hi_u32 s3, s18, s14
	s_mul_i32 s2, s18, s13
	v_mul_lo_u32 v10, s22, v2
	s_add_i32 s2, s3, s2
	s_mul_i32 s3, s19, s14
	v_ashrrev_i32_e32 v2, 31, v4
	s_add_i32 s3, s2, s3
	s_mul_i32 s2, s18, s14
	v_add3_u32 v1, v1, v7, v5
	s_lshl_b64 s[2:3], s[2:3], 1
	v_mul_lo_u32 v11, s24, v2
	v_mul_lo_u32 v12, s25, v4
	v_ashrrev_i32_e32 v7, 31, v8
	v_mad_u64_u32 v[2:3], null, s24, v4, 0
	s_add_u32 s4, s4, s2
	s_mul_i32 s2, s8, s30
	s_mul_hi_u32 s6, s8, s15
	s_addc_u32 s5, s5, s3
	s_add_i32 s2, s6, s2
	s_mul_i32 s3, s9, s15
	v_lshlrev_b64 v[0:1], 1, v[0:1]
	s_add_i32 s3, s2, s3
	s_mul_i32 s2, s8, s15
	v_mul_lo_u32 v9, s23, v6
	v_mad_u64_u32 v[4:5], null, s22, v6, 0
	v_mul_lo_u32 v13, s26, v7
	v_mul_lo_u32 v14, s27, v8
	v_mad_u64_u32 v[6:7], null, s26, v8, 0
	s_lshl_b64 s[2:3], s[2:3], 1
	v_add3_u32 v3, v3, v11, v12
	s_add_u32 s2, s0, s2
	s_mul_i32 s0, s10, s13
	s_mul_hi_u32 s6, s10, s14
	s_addc_u32 s3, s1, s3
	s_add_i32 s0, s6, s0
	s_mul_i32 s1, s11, s14
	v_add_co_u32 v8, vcc_lo, s4, v0
	s_add_i32 s1, s0, s1
	s_mul_i32 s0, s10, s14
	v_add_co_ci_u32_e32 v11, vcc_lo, s5, v1, vcc_lo
	v_add3_u32 v7, v7, v13, v14
	v_lshlrev_b64 v[0:1], 1, v[2:3]
	s_lshl_b64 s[0:1], s[0:1], 1
	v_add3_u32 v5, v5, v10, v9
	s_add_u32 s0, s2, s0
	v_lshlrev_b64 v[2:3], 1, v[6:7]
	s_addc_u32 s1, s3, s1
	v_add_co_u32 v0, vcc_lo, s0, v0
	v_lshlrev_b64 v[4:5], 1, v[4:5]
	v_add_co_ci_u32_e32 v1, vcc_lo, s1, v1, vcc_lo
	s_delay_alu instid0(VALU_DEP_3) | instskip(SKIP_1) | instid1(VALU_DEP_4)
	v_add_co_u32 v2, vcc_lo, v0, v2
	v_mov_b32_e32 v6, 0
	v_add_co_u32 v4, s0, v8, v4
	s_delay_alu instid0(VALU_DEP_1)
	v_add_co_ci_u32_e64 v5, s0, v11, v5, s0
	v_add_co_ci_u32_e32 v1, vcc_lo, v1, v3, vcc_lo
	v_and_b32_e32 v0, -3, v2
	global_load_u16 v4, v[4:5], off
	global_load_b32 v3, v[0:1], off
	v_and_b32_e32 v5, 2, v2
	s_mov_b32 s2, 0
	s_delay_alu instid0(VALU_DEP_1)
	v_cmp_eq_u64_e32 vcc_lo, 0, v[5:6]
	v_cmp_ne_u32_e64 s0, 0, v5
	s_set_inst_prefetch_distance 0x1
	s_branch .LBB4_7
	.p2align	6
.LBB4_6:                                ;   in Loop: Header=BB4_7 Depth=1
	s_or_b32 exec_lo, exec_lo, s1
	global_atomic_cmpswap_b32 v2, v[0:1], v[2:3], off glc
	s_waitcnt vmcnt(0)
	v_cmp_eq_u32_e64 s1, v3, v2
	v_mov_b32_e32 v3, v2
	s_delay_alu instid0(VALU_DEP_2) | instskip(NEXT) | instid1(SALU_CYCLE_1)
	s_or_b32 s2, s1, s2
	s_and_not1_b32 exec_lo, exec_lo, s2
	s_cbranch_execz .LBB4_11
.LBB4_7:                                ; =>This Inner Loop Header: Depth=1
	s_waitcnt vmcnt(0)
	v_lshrrev_b32_e32 v2, 16, v3
	s_delay_alu instid0(VALU_DEP_1) | instskip(NEXT) | instid1(VALU_DEP_1)
	v_cndmask_b32_e32 v2, v2, v3, vcc_lo
	v_add_f16_e32 v2, v4, v2
	s_delay_alu instid0(VALU_DEP_1) | instskip(SKIP_1) | instid1(SALU_CYCLE_1)
	v_and_b32_e32 v5, 0xffff, v2
	s_and_saveexec_b32 s1, s0
	s_xor_b32 s1, exec_lo, s1
; %bb.8:                                ;   in Loop: Header=BB4_7 Depth=1
	v_and_b32_e32 v2, 0xffff, v3
	s_delay_alu instid0(VALU_DEP_1)
	v_lshl_or_b32 v2, v5, 16, v2
                                        ; implicit-def: $vgpr5
; %bb.9:                                ;   in Loop: Header=BB4_7 Depth=1
	s_and_not1_saveexec_b32 s1, s1
	s_cbranch_execz .LBB4_6
; %bb.10:                               ;   in Loop: Header=BB4_7 Depth=1
	v_and_or_b32 v2, 0xffff0000, v3, v5
	s_branch .LBB4_6
.LBB4_11:
	s_set_inst_prefetch_distance 0x2
	s_endpgm
	.section	.rodata,"a",@progbits
	.p2align	6, 0x0
	.amdhsa_kernel _ZN2at6native12_GLOBAL__N_131replication_pad_backward_kernelIN3c104HalfEEEvN5torch10headeronly6detail27GenericPackedTensorAccessorINS7_14TensorAccessorINS3_8ArrayRefIlEET_Lm3ENS6_16DefaultPtrTraitsElEENS_6detail16IndexBoundsCheckILm4ElEESC_Lm4ESD_lEENS8_INS9_ISB_KSC_Lm3ESD_lEESH_SJ_Lm4ESD_lEEiiii
		.amdhsa_group_segment_fixed_size 0
		.amdhsa_private_segment_fixed_size 0
		.amdhsa_kernarg_size 416
		.amdhsa_user_sgpr_count 13
		.amdhsa_user_sgpr_dispatch_ptr 0
		.amdhsa_user_sgpr_queue_ptr 0
		.amdhsa_user_sgpr_kernarg_segment_ptr 1
		.amdhsa_user_sgpr_dispatch_id 0
		.amdhsa_user_sgpr_private_segment_size 0
		.amdhsa_wavefront_size32 1
		.amdhsa_uses_dynamic_stack 0
		.amdhsa_enable_private_segment 0
		.amdhsa_system_sgpr_workgroup_id_x 1
		.amdhsa_system_sgpr_workgroup_id_y 1
		.amdhsa_system_sgpr_workgroup_id_z 1
		.amdhsa_system_sgpr_workgroup_info 0
		.amdhsa_system_vgpr_workitem_id 0
		.amdhsa_next_free_vgpr 15
		.amdhsa_next_free_sgpr 34
		.amdhsa_reserve_vcc 1
		.amdhsa_float_round_mode_32 0
		.amdhsa_float_round_mode_16_64 0
		.amdhsa_float_denorm_mode_32 3
		.amdhsa_float_denorm_mode_16_64 3
		.amdhsa_dx10_clamp 1
		.amdhsa_ieee_mode 1
		.amdhsa_fp16_overflow 0
		.amdhsa_workgroup_processor_mode 1
		.amdhsa_memory_ordered 1
		.amdhsa_forward_progress 0
		.amdhsa_shared_vgpr_count 0
		.amdhsa_exception_fp_ieee_invalid_op 0
		.amdhsa_exception_fp_denorm_src 0
		.amdhsa_exception_fp_ieee_div_zero 0
		.amdhsa_exception_fp_ieee_overflow 0
		.amdhsa_exception_fp_ieee_underflow 0
		.amdhsa_exception_fp_ieee_inexact 0
		.amdhsa_exception_int_div_zero 0
	.end_amdhsa_kernel
	.section	.text._ZN2at6native12_GLOBAL__N_131replication_pad_backward_kernelIN3c104HalfEEEvN5torch10headeronly6detail27GenericPackedTensorAccessorINS7_14TensorAccessorINS3_8ArrayRefIlEET_Lm3ENS6_16DefaultPtrTraitsElEENS_6detail16IndexBoundsCheckILm4ElEESC_Lm4ESD_lEENS8_INS9_ISB_KSC_Lm3ESD_lEESH_SJ_Lm4ESD_lEEiiii,"axG",@progbits,_ZN2at6native12_GLOBAL__N_131replication_pad_backward_kernelIN3c104HalfEEEvN5torch10headeronly6detail27GenericPackedTensorAccessorINS7_14TensorAccessorINS3_8ArrayRefIlEET_Lm3ENS6_16DefaultPtrTraitsElEENS_6detail16IndexBoundsCheckILm4ElEESC_Lm4ESD_lEENS8_INS9_ISB_KSC_Lm3ESD_lEESH_SJ_Lm4ESD_lEEiiii,comdat
.Lfunc_end4:
	.size	_ZN2at6native12_GLOBAL__N_131replication_pad_backward_kernelIN3c104HalfEEEvN5torch10headeronly6detail27GenericPackedTensorAccessorINS7_14TensorAccessorINS3_8ArrayRefIlEET_Lm3ENS6_16DefaultPtrTraitsElEENS_6detail16IndexBoundsCheckILm4ElEESC_Lm4ESD_lEENS8_INS9_ISB_KSC_Lm3ESD_lEESH_SJ_Lm4ESD_lEEiiii, .Lfunc_end4-_ZN2at6native12_GLOBAL__N_131replication_pad_backward_kernelIN3c104HalfEEEvN5torch10headeronly6detail27GenericPackedTensorAccessorINS7_14TensorAccessorINS3_8ArrayRefIlEET_Lm3ENS6_16DefaultPtrTraitsElEENS_6detail16IndexBoundsCheckILm4ElEESC_Lm4ESD_lEENS8_INS9_ISB_KSC_Lm3ESD_lEESH_SJ_Lm4ESD_lEEiiii
                                        ; -- End function
	.section	.AMDGPU.csdata,"",@progbits
; Kernel info:
; codeLenInByte = 1856
; NumSgprs: 36
; NumVgprs: 15
; ScratchSize: 0
; MemoryBound: 0
; FloatMode: 240
; IeeeMode: 1
; LDSByteSize: 0 bytes/workgroup (compile time only)
; SGPRBlocks: 4
; VGPRBlocks: 1
; NumSGPRsForWavesPerEU: 36
; NumVGPRsForWavesPerEU: 15
; Occupancy: 16
; WaveLimiterHint : 1
; COMPUTE_PGM_RSRC2:SCRATCH_EN: 0
; COMPUTE_PGM_RSRC2:USER_SGPR: 13
; COMPUTE_PGM_RSRC2:TRAP_HANDLER: 0
; COMPUTE_PGM_RSRC2:TGID_X_EN: 1
; COMPUTE_PGM_RSRC2:TGID_Y_EN: 1
; COMPUTE_PGM_RSRC2:TGID_Z_EN: 1
; COMPUTE_PGM_RSRC2:TIDIG_COMP_CNT: 0
	.section	.text._ZN2at6native12_GLOBAL__N_131replication_pad_backward_kernelIN3c108BFloat16EEEvN5torch10headeronly6detail27GenericPackedTensorAccessorINS7_14TensorAccessorINS3_8ArrayRefIlEET_Lm3ENS6_16DefaultPtrTraitsElEENS_6detail16IndexBoundsCheckILm4ElEESC_Lm4ESD_lEENS8_INS9_ISB_KSC_Lm3ESD_lEESH_SJ_Lm4ESD_lEEiiii,"axG",@progbits,_ZN2at6native12_GLOBAL__N_131replication_pad_backward_kernelIN3c108BFloat16EEEvN5torch10headeronly6detail27GenericPackedTensorAccessorINS7_14TensorAccessorINS3_8ArrayRefIlEET_Lm3ENS6_16DefaultPtrTraitsElEENS_6detail16IndexBoundsCheckILm4ElEESC_Lm4ESD_lEENS8_INS9_ISB_KSC_Lm3ESD_lEESH_SJ_Lm4ESD_lEEiiii,comdat
	.globl	_ZN2at6native12_GLOBAL__N_131replication_pad_backward_kernelIN3c108BFloat16EEEvN5torch10headeronly6detail27GenericPackedTensorAccessorINS7_14TensorAccessorINS3_8ArrayRefIlEET_Lm3ENS6_16DefaultPtrTraitsElEENS_6detail16IndexBoundsCheckILm4ElEESC_Lm4ESD_lEENS8_INS9_ISB_KSC_Lm3ESD_lEESH_SJ_Lm4ESD_lEEiiii ; -- Begin function _ZN2at6native12_GLOBAL__N_131replication_pad_backward_kernelIN3c108BFloat16EEEvN5torch10headeronly6detail27GenericPackedTensorAccessorINS7_14TensorAccessorINS3_8ArrayRefIlEET_Lm3ENS6_16DefaultPtrTraitsElEENS_6detail16IndexBoundsCheckILm4ElEESC_Lm4ESD_lEENS8_INS9_ISB_KSC_Lm3ESD_lEESH_SJ_Lm4ESD_lEEiiii
	.p2align	8
	.type	_ZN2at6native12_GLOBAL__N_131replication_pad_backward_kernelIN3c108BFloat16EEEvN5torch10headeronly6detail27GenericPackedTensorAccessorINS7_14TensorAccessorINS3_8ArrayRefIlEET_Lm3ENS6_16DefaultPtrTraitsElEENS_6detail16IndexBoundsCheckILm4ElEESC_Lm4ESD_lEENS8_INS9_ISB_KSC_Lm3ESD_lEESH_SJ_Lm4ESD_lEEiiii,@function
_ZN2at6native12_GLOBAL__N_131replication_pad_backward_kernelIN3c108BFloat16EEEvN5torch10headeronly6detail27GenericPackedTensorAccessorINS7_14TensorAccessorINS3_8ArrayRefIlEET_Lm3ENS6_16DefaultPtrTraitsElEENS_6detail16IndexBoundsCheckILm4ElEESC_Lm4ESD_lEENS8_INS9_ISB_KSC_Lm3ESD_lEESH_SJ_Lm4ESD_lEEiiii: ; @_ZN2at6native12_GLOBAL__N_131replication_pad_backward_kernelIN3c108BFloat16EEEvN5torch10headeronly6detail27GenericPackedTensorAccessorINS7_14TensorAccessorINS3_8ArrayRefIlEET_Lm3ENS6_16DefaultPtrTraitsElEENS_6detail16IndexBoundsCheckILm4ElEESC_Lm4ESD_lEENS8_INS9_ISB_KSC_Lm3ESD_lEESH_SJ_Lm4ESD_lEEiiii
; %bb.0:
	s_clause 0x1
	s_load_b32 s2, s[0:1], 0xac
	s_load_b128 s[4:7], s[0:1], 0x60
	s_waitcnt lgkmcnt(0)
	s_and_b32 s2, s2, 0xffff
	s_mul_hi_u32 s3, s6, s4
	v_mad_u64_u32 v[1:2], null, s13, s2, v[0:1]
	s_mul_i32 s2, s6, s5
	s_delay_alu instid0(SALU_CYCLE_1) | instskip(SKIP_1) | instid1(SALU_CYCLE_1)
	s_add_i32 s2, s3, s2
	s_mul_i32 s3, s7, s4
	s_add_i32 s3, s2, s3
	s_delay_alu instid0(VALU_DEP_1)
	v_ashrrev_i32_e32 v2, 31, v1
	s_mul_i32 s2, s6, s4
	s_delay_alu instid0(VALU_DEP_1) | instid1(SALU_CYCLE_1)
	v_cmp_gt_i64_e32 vcc_lo, s[2:3], v[1:2]
	s_and_saveexec_b32 s2, vcc_lo
	s_cbranch_execz .LBB5_11
; %bb.1:
	v_or_b32_e32 v4, s7, v2
	v_mov_b32_e32 v3, 0
	s_delay_alu instid0(VALU_DEP_1) | instskip(SKIP_1) | instid1(SALU_CYCLE_1)
	v_cmp_ne_u64_e32 vcc_lo, 0, v[3:4]
                                        ; implicit-def: $vgpr3_vgpr4
	s_and_saveexec_b32 s2, vcc_lo
	s_xor_b32 s3, exec_lo, s2
	s_cbranch_execz .LBB5_3
; %bb.2:
	s_ashr_i32 s4, s7, 31
	s_delay_alu instid0(SALU_CYCLE_1) | instskip(SKIP_2) | instid1(SALU_CYCLE_1)
	s_add_u32 s8, s6, s4
	s_mov_b32 s5, s4
	s_addc_u32 s9, s7, s4
	s_xor_b64 s[8:9], s[8:9], s[4:5]
	s_delay_alu instid0(SALU_CYCLE_1) | instskip(SKIP_3) | instid1(VALU_DEP_1)
	v_cvt_f32_u32_e32 v0, s8
	v_cvt_f32_u32_e32 v3, s9
	s_sub_u32 s2, 0, s8
	s_subb_u32 s5, 0, s9
	v_fmamk_f32 v0, v3, 0x4f800000, v0
	s_delay_alu instid0(VALU_DEP_1) | instskip(SKIP_2) | instid1(VALU_DEP_1)
	v_rcp_f32_e32 v0, v0
	s_waitcnt_depctr 0xfff
	v_mul_f32_e32 v0, 0x5f7ffffc, v0
	v_mul_f32_e32 v3, 0x2f800000, v0
	s_delay_alu instid0(VALU_DEP_1) | instskip(NEXT) | instid1(VALU_DEP_1)
	v_trunc_f32_e32 v3, v3
	v_fmamk_f32 v0, v3, 0xcf800000, v0
	v_cvt_u32_f32_e32 v3, v3
	s_delay_alu instid0(VALU_DEP_2) | instskip(NEXT) | instid1(VALU_DEP_2)
	v_cvt_u32_f32_e32 v0, v0
	v_mul_lo_u32 v4, s2, v3
	s_delay_alu instid0(VALU_DEP_2) | instskip(SKIP_1) | instid1(VALU_DEP_2)
	v_mul_hi_u32 v5, s2, v0
	v_mul_lo_u32 v6, s5, v0
	v_add_nc_u32_e32 v4, v5, v4
	v_mul_lo_u32 v5, s2, v0
	s_delay_alu instid0(VALU_DEP_2) | instskip(NEXT) | instid1(VALU_DEP_2)
	v_add_nc_u32_e32 v4, v4, v6
	v_mul_hi_u32 v6, v0, v5
	s_delay_alu instid0(VALU_DEP_2)
	v_mul_lo_u32 v7, v0, v4
	v_mul_hi_u32 v8, v0, v4
	v_mul_hi_u32 v9, v3, v5
	v_mul_lo_u32 v5, v3, v5
	v_mul_hi_u32 v10, v3, v4
	v_mul_lo_u32 v4, v3, v4
	v_add_co_u32 v6, vcc_lo, v6, v7
	v_add_co_ci_u32_e32 v7, vcc_lo, 0, v8, vcc_lo
	s_delay_alu instid0(VALU_DEP_2) | instskip(NEXT) | instid1(VALU_DEP_2)
	v_add_co_u32 v5, vcc_lo, v6, v5
	v_add_co_ci_u32_e32 v5, vcc_lo, v7, v9, vcc_lo
	v_add_co_ci_u32_e32 v6, vcc_lo, 0, v10, vcc_lo
	v_ashrrev_i32_e32 v9, 31, v2
	s_delay_alu instid0(VALU_DEP_3) | instskip(NEXT) | instid1(VALU_DEP_3)
	v_add_co_u32 v4, vcc_lo, v5, v4
	v_add_co_ci_u32_e32 v5, vcc_lo, 0, v6, vcc_lo
	s_delay_alu instid0(VALU_DEP_2) | instskip(NEXT) | instid1(VALU_DEP_2)
	v_add_co_u32 v0, vcc_lo, v0, v4
	v_add_co_ci_u32_e32 v3, vcc_lo, v3, v5, vcc_lo
	s_delay_alu instid0(VALU_DEP_2) | instskip(SKIP_1) | instid1(VALU_DEP_3)
	v_mul_hi_u32 v4, s2, v0
	v_mul_lo_u32 v6, s5, v0
	v_mul_lo_u32 v5, s2, v3
	s_delay_alu instid0(VALU_DEP_1) | instskip(SKIP_1) | instid1(VALU_DEP_2)
	v_add_nc_u32_e32 v4, v4, v5
	v_mul_lo_u32 v5, s2, v0
	v_add_nc_u32_e32 v4, v4, v6
	s_delay_alu instid0(VALU_DEP_2) | instskip(NEXT) | instid1(VALU_DEP_2)
	v_mul_hi_u32 v6, v0, v5
	v_mul_lo_u32 v7, v0, v4
	v_mul_hi_u32 v8, v0, v4
	v_mul_hi_u32 v10, v3, v5
	v_mul_lo_u32 v5, v3, v5
	v_mul_hi_u32 v11, v3, v4
	v_mul_lo_u32 v4, v3, v4
	v_add_co_u32 v6, vcc_lo, v6, v7
	v_add_co_ci_u32_e32 v7, vcc_lo, 0, v8, vcc_lo
	s_delay_alu instid0(VALU_DEP_2) | instskip(NEXT) | instid1(VALU_DEP_2)
	v_add_co_u32 v5, vcc_lo, v6, v5
	v_add_co_ci_u32_e32 v5, vcc_lo, v7, v10, vcc_lo
	v_add_co_ci_u32_e32 v6, vcc_lo, 0, v11, vcc_lo
	v_add_co_u32 v7, vcc_lo, v1, v9
	v_add_co_ci_u32_e32 v8, vcc_lo, v2, v9, vcc_lo
	s_delay_alu instid0(VALU_DEP_4) | instskip(NEXT) | instid1(VALU_DEP_4)
	v_add_co_u32 v4, vcc_lo, v5, v4
	v_add_co_ci_u32_e32 v5, vcc_lo, 0, v6, vcc_lo
	s_delay_alu instid0(VALU_DEP_4) | instskip(NEXT) | instid1(VALU_DEP_3)
	v_xor_b32_e32 v10, v7, v9
	v_add_co_u32 v0, vcc_lo, v0, v4
	s_delay_alu instid0(VALU_DEP_3) | instskip(SKIP_1) | instid1(VALU_DEP_3)
	v_add_co_ci_u32_e32 v11, vcc_lo, v3, v5, vcc_lo
	v_xor_b32_e32 v12, v8, v9
	v_mul_hi_u32 v13, v10, v0
	s_delay_alu instid0(VALU_DEP_3) | instskip(NEXT) | instid1(VALU_DEP_3)
	v_mad_u64_u32 v[3:4], null, v10, v11, 0
	v_mad_u64_u32 v[5:6], null, v12, v0, 0
	;; [unrolled: 1-line block ×3, first 2 shown]
	s_delay_alu instid0(VALU_DEP_3) | instskip(NEXT) | instid1(VALU_DEP_4)
	v_add_co_u32 v0, vcc_lo, v13, v3
	v_add_co_ci_u32_e32 v3, vcc_lo, 0, v4, vcc_lo
	s_delay_alu instid0(VALU_DEP_2) | instskip(NEXT) | instid1(VALU_DEP_2)
	v_add_co_u32 v0, vcc_lo, v0, v5
	v_add_co_ci_u32_e32 v0, vcc_lo, v3, v6, vcc_lo
	v_add_co_ci_u32_e32 v3, vcc_lo, 0, v8, vcc_lo
	s_delay_alu instid0(VALU_DEP_2) | instskip(NEXT) | instid1(VALU_DEP_2)
	v_add_co_u32 v0, vcc_lo, v0, v7
	v_add_co_ci_u32_e32 v5, vcc_lo, 0, v3, vcc_lo
	s_delay_alu instid0(VALU_DEP_2) | instskip(SKIP_1) | instid1(VALU_DEP_3)
	v_mul_lo_u32 v6, s9, v0
	v_mad_u64_u32 v[3:4], null, s8, v0, 0
	v_mul_lo_u32 v7, s8, v5
	s_delay_alu instid0(VALU_DEP_2) | instskip(NEXT) | instid1(VALU_DEP_2)
	v_sub_co_u32 v3, vcc_lo, v10, v3
	v_add3_u32 v4, v4, v7, v6
	s_delay_alu instid0(VALU_DEP_1) | instskip(NEXT) | instid1(VALU_DEP_1)
	v_sub_nc_u32_e32 v6, v12, v4
	v_subrev_co_ci_u32_e64 v6, s2, s9, v6, vcc_lo
	v_add_co_u32 v7, s2, v0, 2
	s_delay_alu instid0(VALU_DEP_1) | instskip(SKIP_3) | instid1(VALU_DEP_3)
	v_add_co_ci_u32_e64 v8, s2, 0, v5, s2
	v_sub_co_u32 v10, s2, v3, s8
	v_sub_co_ci_u32_e32 v4, vcc_lo, v12, v4, vcc_lo
	v_subrev_co_ci_u32_e64 v6, s2, 0, v6, s2
	v_cmp_le_u32_e32 vcc_lo, s8, v10
	s_delay_alu instid0(VALU_DEP_3) | instskip(SKIP_1) | instid1(VALU_DEP_4)
	v_cmp_eq_u32_e64 s2, s9, v4
	v_cndmask_b32_e64 v10, 0, -1, vcc_lo
	v_cmp_le_u32_e32 vcc_lo, s9, v6
	v_cndmask_b32_e64 v11, 0, -1, vcc_lo
	v_cmp_le_u32_e32 vcc_lo, s8, v3
	;; [unrolled: 2-line block ×3, first 2 shown]
	v_cndmask_b32_e64 v12, 0, -1, vcc_lo
	v_cmp_eq_u32_e32 vcc_lo, s9, v6
	s_delay_alu instid0(VALU_DEP_2) | instskip(SKIP_3) | instid1(VALU_DEP_3)
	v_cndmask_b32_e64 v3, v12, v3, s2
	v_cndmask_b32_e32 v6, v11, v10, vcc_lo
	v_add_co_u32 v10, vcc_lo, v0, 1
	v_add_co_ci_u32_e32 v11, vcc_lo, 0, v5, vcc_lo
	v_cmp_ne_u32_e32 vcc_lo, 0, v6
	s_delay_alu instid0(VALU_DEP_2) | instskip(NEXT) | instid1(VALU_DEP_4)
	v_cndmask_b32_e32 v4, v11, v8, vcc_lo
	v_cndmask_b32_e32 v6, v10, v7, vcc_lo
	v_cmp_ne_u32_e32 vcc_lo, 0, v3
	v_xor_b32_e32 v7, s4, v9
	s_delay_alu instid0(VALU_DEP_3) | instskip(NEXT) | instid1(VALU_DEP_1)
	v_dual_cndmask_b32 v0, v0, v6 :: v_dual_cndmask_b32 v3, v5, v4
	v_xor_b32_e32 v0, v0, v7
	s_delay_alu instid0(VALU_DEP_2) | instskip(NEXT) | instid1(VALU_DEP_2)
	v_xor_b32_e32 v4, v3, v7
	v_sub_co_u32 v3, vcc_lo, v0, v7
	s_delay_alu instid0(VALU_DEP_2)
	v_sub_co_ci_u32_e32 v4, vcc_lo, v4, v7, vcc_lo
.LBB5_3:
	s_and_not1_saveexec_b32 s2, s3
	s_cbranch_execz .LBB5_5
; %bb.4:
	v_cvt_f32_u32_e32 v0, s6
	s_sub_i32 s3, 0, s6
	s_delay_alu instid0(VALU_DEP_1) | instskip(SKIP_2) | instid1(VALU_DEP_1)
	v_rcp_iflag_f32_e32 v0, v0
	s_waitcnt_depctr 0xfff
	v_mul_f32_e32 v0, 0x4f7ffffe, v0
	v_cvt_u32_f32_e32 v0, v0
	s_delay_alu instid0(VALU_DEP_1) | instskip(NEXT) | instid1(VALU_DEP_1)
	v_mul_lo_u32 v3, s3, v0
	v_mul_hi_u32 v3, v0, v3
	s_delay_alu instid0(VALU_DEP_1) | instskip(NEXT) | instid1(VALU_DEP_1)
	v_add_nc_u32_e32 v0, v0, v3
	v_mul_hi_u32 v0, v1, v0
	s_delay_alu instid0(VALU_DEP_1) | instskip(SKIP_1) | instid1(VALU_DEP_2)
	v_mul_lo_u32 v3, v0, s6
	v_add_nc_u32_e32 v4, 1, v0
	v_sub_nc_u32_e32 v3, v1, v3
	s_delay_alu instid0(VALU_DEP_1) | instskip(SKIP_1) | instid1(VALU_DEP_2)
	v_subrev_nc_u32_e32 v5, s6, v3
	v_cmp_le_u32_e32 vcc_lo, s6, v3
	v_dual_cndmask_b32 v3, v3, v5 :: v_dual_cndmask_b32 v0, v0, v4
	s_delay_alu instid0(VALU_DEP_1) | instskip(NEXT) | instid1(VALU_DEP_2)
	v_cmp_le_u32_e32 vcc_lo, s6, v3
	v_add_nc_u32_e32 v4, 1, v0
	s_delay_alu instid0(VALU_DEP_1)
	v_dual_cndmask_b32 v3, v0, v4 :: v_dual_mov_b32 v4, 0
.LBB5_5:
	s_or_b32 exec_lo, exec_lo, s2
	s_load_b128 s[28:31], s[0:1], 0x90
	s_delay_alu instid0(VALU_DEP_1) | instskip(NEXT) | instid1(VALU_DEP_2)
	v_mul_lo_u32 v0, v4, s6
	v_mul_lo_u32 v6, v3, s7
	v_mad_u64_u32 v[4:5], null, v3, s6, 0
	s_clause 0x4
	s_load_b256 s[4:11], s[0:1], 0x18
	s_load_b256 s[16:23], s[0:1], 0x70
	s_load_b64 s[2:3], s[0:1], 0x48
	s_load_b128 s[24:27], s[0:1], 0x38
	s_load_b64 s[0:1], s[0:1], 0x0
	s_delay_alu instid0(VALU_DEP_1) | instskip(SKIP_1) | instid1(VALU_DEP_2)
	v_add3_u32 v0, v5, v6, v0
	v_sub_co_u32 v6, vcc_lo, v1, v4
	v_sub_co_ci_u32_e32 v2, vcc_lo, v2, v0, vcc_lo
	v_ashrrev_i32_e32 v0, 31, v3
	s_waitcnt lgkmcnt(0)
	s_add_i32 s15, s15, s31
	s_add_i32 s14, s14, s30
	s_sub_i32 s5, 0, s29
	s_ashr_i32 s30, s15, 31
	s_max_i32 s12, s29, 0
	s_max_i32 s5, s5, 0
	s_mul_i32 s31, s16, s30
	s_mul_hi_u32 s33, s16, s15
	s_add_i32 s6, s29, s6
	s_sub_i32 s12, s5, s12
	s_add_i32 s5, s33, s31
	s_add_i32 s31, s28, s4
	s_add_i32 s6, s6, -1
	s_add_i32 s31, s31, -1
	s_sub_i32 s7, 0, s28
	s_mul_i32 s17, s17, s15
	v_maxmin_i32 v4, s29, v6, s6
	v_mul_lo_u32 v5, s21, v3
	v_mul_lo_u32 v7, s20, v0
	v_mad_u64_u32 v[0:1], null, s20, v3, 0
	v_maxmin_i32 v3, s28, v3, s31
	s_max_i32 s13, s28, 0
	s_max_i32 s7, s7, 0
	s_add_i32 s5, s5, s17
	s_mul_i32 s4, s16, s15
	s_sub_i32 s7, s7, s13
	s_lshl_b64 s[4:5], s[4:5], 1
	v_add_nc_u32_e32 v8, s12, v4
	s_add_u32 s4, s2, s4
	v_add_nc_u32_e32 v4, s7, v3
	s_addc_u32 s5, s3, s5
	s_ashr_i32 s13, s14, 31
	s_mul_hi_u32 s3, s18, s14
	s_mul_i32 s2, s18, s13
	v_mul_lo_u32 v10, s22, v2
	s_add_i32 s2, s3, s2
	s_mul_i32 s3, s19, s14
	v_ashrrev_i32_e32 v2, 31, v4
	s_add_i32 s3, s2, s3
	s_mul_i32 s2, s18, s14
	v_add3_u32 v1, v1, v7, v5
	s_lshl_b64 s[2:3], s[2:3], 1
	v_mul_lo_u32 v11, s24, v2
	v_mul_lo_u32 v12, s25, v4
	v_ashrrev_i32_e32 v7, 31, v8
	v_mad_u64_u32 v[2:3], null, s24, v4, 0
	s_add_u32 s4, s4, s2
	s_mul_i32 s2, s8, s30
	s_mul_hi_u32 s6, s8, s15
	s_addc_u32 s5, s5, s3
	s_add_i32 s2, s6, s2
	s_mul_i32 s3, s9, s15
	v_lshlrev_b64 v[0:1], 1, v[0:1]
	s_add_i32 s3, s2, s3
	s_mul_i32 s2, s8, s15
	v_mul_lo_u32 v9, s23, v6
	v_mad_u64_u32 v[4:5], null, s22, v6, 0
	v_mul_lo_u32 v13, s26, v7
	v_mul_lo_u32 v14, s27, v8
	v_mad_u64_u32 v[6:7], null, s26, v8, 0
	s_lshl_b64 s[2:3], s[2:3], 1
	v_add3_u32 v3, v3, v11, v12
	s_add_u32 s2, s0, s2
	s_mul_i32 s0, s10, s13
	s_mul_hi_u32 s6, s10, s14
	s_addc_u32 s3, s1, s3
	s_add_i32 s0, s6, s0
	s_mul_i32 s1, s11, s14
	v_add_co_u32 v8, vcc_lo, s4, v0
	s_add_i32 s1, s0, s1
	s_mul_i32 s0, s10, s14
	v_add_co_ci_u32_e32 v11, vcc_lo, s5, v1, vcc_lo
	v_add3_u32 v7, v7, v13, v14
	v_lshlrev_b64 v[0:1], 1, v[2:3]
	s_lshl_b64 s[0:1], s[0:1], 1
	v_add3_u32 v5, v5, v10, v9
	s_add_u32 s0, s2, s0
	v_lshlrev_b64 v[2:3], 1, v[6:7]
	s_addc_u32 s1, s3, s1
	v_add_co_u32 v0, vcc_lo, s0, v0
	v_lshlrev_b64 v[4:5], 1, v[4:5]
	v_add_co_ci_u32_e32 v1, vcc_lo, s1, v1, vcc_lo
	s_delay_alu instid0(VALU_DEP_3) | instskip(SKIP_1) | instid1(VALU_DEP_3)
	v_add_co_u32 v2, vcc_lo, v0, v2
	s_mov_b32 s2, 0
	v_add_co_u32 v4, s0, v8, v4
	s_delay_alu instid0(VALU_DEP_1)
	v_add_co_ci_u32_e64 v5, s0, v11, v5, s0
	v_add_co_ci_u32_e32 v1, vcc_lo, v1, v3, vcc_lo
	v_and_b32_e32 v0, -3, v2
	global_load_u16 v6, v[4:5], off
	global_load_b32 v3, v[0:1], off
	v_dual_mov_b32 v5, 0 :: v_dual_and_b32 v4, 2, v2
	s_delay_alu instid0(VALU_DEP_1)
	v_cmp_eq_u64_e32 vcc_lo, 0, v[4:5]
	v_cmp_ne_u32_e64 s0, 0, v4
	s_waitcnt vmcnt(1)
	v_lshlrev_b32_e32 v4, 16, v6
	s_set_inst_prefetch_distance 0x1
	s_branch .LBB5_7
	.p2align	6
.LBB5_6:                                ;   in Loop: Header=BB5_7 Depth=1
	s_or_b32 exec_lo, exec_lo, s1
	global_atomic_cmpswap_b32 v2, v[0:1], v[2:3], off glc
	s_waitcnt vmcnt(0)
	v_cmp_eq_u32_e64 s1, v3, v2
	v_mov_b32_e32 v3, v2
	s_delay_alu instid0(VALU_DEP_2) | instskip(NEXT) | instid1(SALU_CYCLE_1)
	s_or_b32 s2, s1, s2
	s_and_not1_b32 exec_lo, exec_lo, s2
	s_cbranch_execz .LBB5_11
.LBB5_7:                                ; =>This Inner Loop Header: Depth=1
	s_waitcnt vmcnt(0)
	v_lshrrev_b32_e32 v2, 16, v3
	s_delay_alu instid0(VALU_DEP_1) | instskip(NEXT) | instid1(VALU_DEP_1)
	v_cndmask_b32_e32 v2, v2, v3, vcc_lo
	v_lshlrev_b32_e32 v2, 16, v2
	s_delay_alu instid0(VALU_DEP_1) | instskip(NEXT) | instid1(VALU_DEP_1)
	v_add_f32_e32 v2, v4, v2
	v_bfe_u32 v5, v2, 16, 1
	v_cmp_o_f32_e64 s1, v2, v2
	s_delay_alu instid0(VALU_DEP_2) | instskip(NEXT) | instid1(VALU_DEP_1)
	v_add3_u32 v5, v2, v5, 0x7fff
	v_lshrrev_b32_e32 v5, 16, v5
	s_delay_alu instid0(VALU_DEP_1) | instskip(SKIP_1) | instid1(SALU_CYCLE_1)
	v_cndmask_b32_e64 v5, 0x7fc0, v5, s1
	s_and_saveexec_b32 s1, s0
	s_xor_b32 s1, exec_lo, s1
; %bb.8:                                ;   in Loop: Header=BB5_7 Depth=1
	v_and_b32_e32 v2, 0xffff, v3
	s_delay_alu instid0(VALU_DEP_1)
	v_lshl_or_b32 v2, v5, 16, v2
                                        ; implicit-def: $vgpr5
; %bb.9:                                ;   in Loop: Header=BB5_7 Depth=1
	s_and_not1_saveexec_b32 s1, s1
	s_cbranch_execz .LBB5_6
; %bb.10:                               ;   in Loop: Header=BB5_7 Depth=1
	v_and_or_b32 v2, 0xffff0000, v3, v5
	s_branch .LBB5_6
.LBB5_11:
	s_set_inst_prefetch_distance 0x2
	s_endpgm
	.section	.rodata,"a",@progbits
	.p2align	6, 0x0
	.amdhsa_kernel _ZN2at6native12_GLOBAL__N_131replication_pad_backward_kernelIN3c108BFloat16EEEvN5torch10headeronly6detail27GenericPackedTensorAccessorINS7_14TensorAccessorINS3_8ArrayRefIlEET_Lm3ENS6_16DefaultPtrTraitsElEENS_6detail16IndexBoundsCheckILm4ElEESC_Lm4ESD_lEENS8_INS9_ISB_KSC_Lm3ESD_lEESH_SJ_Lm4ESD_lEEiiii
		.amdhsa_group_segment_fixed_size 0
		.amdhsa_private_segment_fixed_size 0
		.amdhsa_kernarg_size 416
		.amdhsa_user_sgpr_count 13
		.amdhsa_user_sgpr_dispatch_ptr 0
		.amdhsa_user_sgpr_queue_ptr 0
		.amdhsa_user_sgpr_kernarg_segment_ptr 1
		.amdhsa_user_sgpr_dispatch_id 0
		.amdhsa_user_sgpr_private_segment_size 0
		.amdhsa_wavefront_size32 1
		.amdhsa_uses_dynamic_stack 0
		.amdhsa_enable_private_segment 0
		.amdhsa_system_sgpr_workgroup_id_x 1
		.amdhsa_system_sgpr_workgroup_id_y 1
		.amdhsa_system_sgpr_workgroup_id_z 1
		.amdhsa_system_sgpr_workgroup_info 0
		.amdhsa_system_vgpr_workitem_id 0
		.amdhsa_next_free_vgpr 15
		.amdhsa_next_free_sgpr 34
		.amdhsa_reserve_vcc 1
		.amdhsa_float_round_mode_32 0
		.amdhsa_float_round_mode_16_64 0
		.amdhsa_float_denorm_mode_32 3
		.amdhsa_float_denorm_mode_16_64 3
		.amdhsa_dx10_clamp 1
		.amdhsa_ieee_mode 1
		.amdhsa_fp16_overflow 0
		.amdhsa_workgroup_processor_mode 1
		.amdhsa_memory_ordered 1
		.amdhsa_forward_progress 0
		.amdhsa_shared_vgpr_count 0
		.amdhsa_exception_fp_ieee_invalid_op 0
		.amdhsa_exception_fp_denorm_src 0
		.amdhsa_exception_fp_ieee_div_zero 0
		.amdhsa_exception_fp_ieee_overflow 0
		.amdhsa_exception_fp_ieee_underflow 0
		.amdhsa_exception_fp_ieee_inexact 0
		.amdhsa_exception_int_div_zero 0
	.end_amdhsa_kernel
	.section	.text._ZN2at6native12_GLOBAL__N_131replication_pad_backward_kernelIN3c108BFloat16EEEvN5torch10headeronly6detail27GenericPackedTensorAccessorINS7_14TensorAccessorINS3_8ArrayRefIlEET_Lm3ENS6_16DefaultPtrTraitsElEENS_6detail16IndexBoundsCheckILm4ElEESC_Lm4ESD_lEENS8_INS9_ISB_KSC_Lm3ESD_lEESH_SJ_Lm4ESD_lEEiiii,"axG",@progbits,_ZN2at6native12_GLOBAL__N_131replication_pad_backward_kernelIN3c108BFloat16EEEvN5torch10headeronly6detail27GenericPackedTensorAccessorINS7_14TensorAccessorINS3_8ArrayRefIlEET_Lm3ENS6_16DefaultPtrTraitsElEENS_6detail16IndexBoundsCheckILm4ElEESC_Lm4ESD_lEENS8_INS9_ISB_KSC_Lm3ESD_lEESH_SJ_Lm4ESD_lEEiiii,comdat
.Lfunc_end5:
	.size	_ZN2at6native12_GLOBAL__N_131replication_pad_backward_kernelIN3c108BFloat16EEEvN5torch10headeronly6detail27GenericPackedTensorAccessorINS7_14TensorAccessorINS3_8ArrayRefIlEET_Lm3ENS6_16DefaultPtrTraitsElEENS_6detail16IndexBoundsCheckILm4ElEESC_Lm4ESD_lEENS8_INS9_ISB_KSC_Lm3ESD_lEESH_SJ_Lm4ESD_lEEiiii, .Lfunc_end5-_ZN2at6native12_GLOBAL__N_131replication_pad_backward_kernelIN3c108BFloat16EEEvN5torch10headeronly6detail27GenericPackedTensorAccessorINS7_14TensorAccessorINS3_8ArrayRefIlEET_Lm3ENS6_16DefaultPtrTraitsElEENS_6detail16IndexBoundsCheckILm4ElEESC_Lm4ESD_lEENS8_INS9_ISB_KSC_Lm3ESD_lEESH_SJ_Lm4ESD_lEEiiii
                                        ; -- End function
	.section	.AMDGPU.csdata,"",@progbits
; Kernel info:
; codeLenInByte = 1912
; NumSgprs: 36
; NumVgprs: 15
; ScratchSize: 0
; MemoryBound: 0
; FloatMode: 240
; IeeeMode: 1
; LDSByteSize: 0 bytes/workgroup (compile time only)
; SGPRBlocks: 4
; VGPRBlocks: 1
; NumSGPRsForWavesPerEU: 36
; NumVGPRsForWavesPerEU: 15
; Occupancy: 16
; WaveLimiterHint : 1
; COMPUTE_PGM_RSRC2:SCRATCH_EN: 0
; COMPUTE_PGM_RSRC2:USER_SGPR: 13
; COMPUTE_PGM_RSRC2:TRAP_HANDLER: 0
; COMPUTE_PGM_RSRC2:TGID_X_EN: 1
; COMPUTE_PGM_RSRC2:TGID_Y_EN: 1
; COMPUTE_PGM_RSRC2:TGID_Z_EN: 1
; COMPUTE_PGM_RSRC2:TIDIG_COMP_CNT: 0
	.section	.text._ZN2at6native12_GLOBAL__N_131replication_pad_backward_kernelIdEEvN5torch10headeronly6detail27GenericPackedTensorAccessorINS5_14TensorAccessorIN3c108ArrayRefIlEET_Lm4ENS4_16DefaultPtrTraitsElEENS_6detail16IndexBoundsCheckILm5ElEESB_Lm5ESC_lEENS6_INS7_ISA_KSB_Lm4ESC_lEESG_SI_Lm5ESC_lEEiiiii,"axG",@progbits,_ZN2at6native12_GLOBAL__N_131replication_pad_backward_kernelIdEEvN5torch10headeronly6detail27GenericPackedTensorAccessorINS5_14TensorAccessorIN3c108ArrayRefIlEET_Lm4ENS4_16DefaultPtrTraitsElEENS_6detail16IndexBoundsCheckILm5ElEESB_Lm5ESC_lEENS6_INS7_ISA_KSB_Lm4ESC_lEESG_SI_Lm5ESC_lEEiiiii,comdat
	.globl	_ZN2at6native12_GLOBAL__N_131replication_pad_backward_kernelIdEEvN5torch10headeronly6detail27GenericPackedTensorAccessorINS5_14TensorAccessorIN3c108ArrayRefIlEET_Lm4ENS4_16DefaultPtrTraitsElEENS_6detail16IndexBoundsCheckILm5ElEESB_Lm5ESC_lEENS6_INS7_ISA_KSB_Lm4ESC_lEESG_SI_Lm5ESC_lEEiiiii ; -- Begin function _ZN2at6native12_GLOBAL__N_131replication_pad_backward_kernelIdEEvN5torch10headeronly6detail27GenericPackedTensorAccessorINS5_14TensorAccessorIN3c108ArrayRefIlEET_Lm4ENS4_16DefaultPtrTraitsElEENS_6detail16IndexBoundsCheckILm5ElEESB_Lm5ESC_lEENS6_INS7_ISA_KSB_Lm4ESC_lEESG_SI_Lm5ESC_lEEiiiii
	.p2align	8
	.type	_ZN2at6native12_GLOBAL__N_131replication_pad_backward_kernelIdEEvN5torch10headeronly6detail27GenericPackedTensorAccessorINS5_14TensorAccessorIN3c108ArrayRefIlEET_Lm4ENS4_16DefaultPtrTraitsElEENS_6detail16IndexBoundsCheckILm5ElEESB_Lm5ESC_lEENS6_INS7_ISA_KSB_Lm4ESC_lEESG_SI_Lm5ESC_lEEiiiii,@function
_ZN2at6native12_GLOBAL__N_131replication_pad_backward_kernelIdEEvN5torch10headeronly6detail27GenericPackedTensorAccessorINS5_14TensorAccessorIN3c108ArrayRefIlEET_Lm4ENS4_16DefaultPtrTraitsElEENS_6detail16IndexBoundsCheckILm5ElEESB_Lm5ESC_lEENS6_INS7_ISA_KSB_Lm4ESC_lEESG_SI_Lm5ESC_lEEiiiii: ; @_ZN2at6native12_GLOBAL__N_131replication_pad_backward_kernelIdEEvN5torch10headeronly6detail27GenericPackedTensorAccessorINS5_14TensorAccessorIN3c108ArrayRefIlEET_Lm4ENS4_16DefaultPtrTraitsElEENS_6detail16IndexBoundsCheckILm5ElEESB_Lm5ESC_lEENS6_INS7_ISA_KSB_Lm4ESC_lEESG_SI_Lm5ESC_lEEiiiii
; %bb.0:
	s_clause 0x2
	s_load_b32 s2, s[0:1], 0xd4
	s_load_b128 s[4:7], s[0:1], 0x70
	s_load_b64 s[8:9], s[0:1], 0x80
	s_waitcnt lgkmcnt(0)
	s_and_b32 s2, s2, 0xffff
	s_delay_alu instid0(SALU_CYCLE_1)
	v_mad_u64_u32 v[1:2], null, s13, s2, v[0:1]
	s_mul_i32 s10, s8, s7
	s_mul_hi_u32 s11, s8, s6
	s_mul_i32 s2, s9, s6
	s_mul_i32 s3, s8, s6
	s_add_i32 s12, s11, s10
	s_mul_i32 s5, s3, s5
	s_mul_hi_u32 s10, s3, s4
	s_add_i32 s12, s12, s2
	v_ashrrev_i32_e32 v2, 31, v1
	s_add_i32 s2, s10, s5
	s_mul_i32 s5, s12, s4
	s_mul_i32 s4, s3, s4
	s_add_i32 s5, s2, s5
	s_mov_b32 s2, exec_lo
	v_cmpx_gt_i64_e64 s[4:5], v[1:2]
	s_cbranch_execz .LBB6_15
; %bb.1:
	v_or_b32_e32 v4, s9, v2
	v_mov_b32_e32 v3, 0
	s_delay_alu instid0(VALU_DEP_1) | instskip(SKIP_1) | instid1(SALU_CYCLE_1)
	v_cmp_ne_u64_e32 vcc_lo, 0, v[3:4]
                                        ; implicit-def: $vgpr3_vgpr4
	s_and_saveexec_b32 s2, vcc_lo
	s_xor_b32 s13, exec_lo, s2
	s_cbranch_execz .LBB6_3
; %bb.2:
	s_ashr_i32 s4, s9, 31
	s_delay_alu instid0(SALU_CYCLE_1) | instskip(SKIP_2) | instid1(SALU_CYCLE_1)
	s_add_u32 s10, s8, s4
	s_mov_b32 s5, s4
	s_addc_u32 s11, s9, s4
	s_xor_b64 s[10:11], s[10:11], s[4:5]
	s_delay_alu instid0(SALU_CYCLE_1) | instskip(SKIP_3) | instid1(VALU_DEP_1)
	v_cvt_f32_u32_e32 v0, s10
	v_cvt_f32_u32_e32 v3, s11
	s_sub_u32 s2, 0, s10
	s_subb_u32 s5, 0, s11
	v_fmamk_f32 v0, v3, 0x4f800000, v0
	s_delay_alu instid0(VALU_DEP_1) | instskip(SKIP_2) | instid1(VALU_DEP_1)
	v_rcp_f32_e32 v0, v0
	s_waitcnt_depctr 0xfff
	v_mul_f32_e32 v0, 0x5f7ffffc, v0
	v_mul_f32_e32 v3, 0x2f800000, v0
	s_delay_alu instid0(VALU_DEP_1) | instskip(NEXT) | instid1(VALU_DEP_1)
	v_trunc_f32_e32 v3, v3
	v_fmamk_f32 v0, v3, 0xcf800000, v0
	v_cvt_u32_f32_e32 v3, v3
	s_delay_alu instid0(VALU_DEP_2) | instskip(NEXT) | instid1(VALU_DEP_2)
	v_cvt_u32_f32_e32 v0, v0
	v_mul_lo_u32 v4, s2, v3
	s_delay_alu instid0(VALU_DEP_2) | instskip(SKIP_1) | instid1(VALU_DEP_2)
	v_mul_hi_u32 v5, s2, v0
	v_mul_lo_u32 v6, s5, v0
	v_add_nc_u32_e32 v4, v5, v4
	v_mul_lo_u32 v5, s2, v0
	s_delay_alu instid0(VALU_DEP_2) | instskip(NEXT) | instid1(VALU_DEP_2)
	v_add_nc_u32_e32 v4, v4, v6
	v_mul_hi_u32 v6, v0, v5
	s_delay_alu instid0(VALU_DEP_2)
	v_mul_lo_u32 v7, v0, v4
	v_mul_hi_u32 v8, v0, v4
	v_mul_hi_u32 v9, v3, v5
	v_mul_lo_u32 v5, v3, v5
	v_mul_hi_u32 v10, v3, v4
	v_mul_lo_u32 v4, v3, v4
	v_add_co_u32 v6, vcc_lo, v6, v7
	v_add_co_ci_u32_e32 v7, vcc_lo, 0, v8, vcc_lo
	s_delay_alu instid0(VALU_DEP_2) | instskip(NEXT) | instid1(VALU_DEP_2)
	v_add_co_u32 v5, vcc_lo, v6, v5
	v_add_co_ci_u32_e32 v5, vcc_lo, v7, v9, vcc_lo
	v_add_co_ci_u32_e32 v6, vcc_lo, 0, v10, vcc_lo
	v_ashrrev_i32_e32 v9, 31, v2
	s_delay_alu instid0(VALU_DEP_3) | instskip(NEXT) | instid1(VALU_DEP_3)
	v_add_co_u32 v4, vcc_lo, v5, v4
	v_add_co_ci_u32_e32 v5, vcc_lo, 0, v6, vcc_lo
	s_delay_alu instid0(VALU_DEP_2) | instskip(NEXT) | instid1(VALU_DEP_2)
	v_add_co_u32 v0, vcc_lo, v0, v4
	v_add_co_ci_u32_e32 v3, vcc_lo, v3, v5, vcc_lo
	s_delay_alu instid0(VALU_DEP_2) | instskip(SKIP_1) | instid1(VALU_DEP_3)
	v_mul_hi_u32 v4, s2, v0
	v_mul_lo_u32 v6, s5, v0
	v_mul_lo_u32 v5, s2, v3
	s_delay_alu instid0(VALU_DEP_1) | instskip(SKIP_1) | instid1(VALU_DEP_2)
	v_add_nc_u32_e32 v4, v4, v5
	v_mul_lo_u32 v5, s2, v0
	v_add_nc_u32_e32 v4, v4, v6
	s_delay_alu instid0(VALU_DEP_2) | instskip(NEXT) | instid1(VALU_DEP_2)
	v_mul_hi_u32 v6, v0, v5
	v_mul_lo_u32 v7, v0, v4
	v_mul_hi_u32 v8, v0, v4
	v_mul_hi_u32 v10, v3, v5
	v_mul_lo_u32 v5, v3, v5
	v_mul_hi_u32 v11, v3, v4
	v_mul_lo_u32 v4, v3, v4
	v_add_co_u32 v6, vcc_lo, v6, v7
	v_add_co_ci_u32_e32 v7, vcc_lo, 0, v8, vcc_lo
	s_delay_alu instid0(VALU_DEP_2) | instskip(NEXT) | instid1(VALU_DEP_2)
	v_add_co_u32 v5, vcc_lo, v6, v5
	v_add_co_ci_u32_e32 v5, vcc_lo, v7, v10, vcc_lo
	v_add_co_ci_u32_e32 v6, vcc_lo, 0, v11, vcc_lo
	v_add_co_u32 v7, vcc_lo, v1, v9
	v_add_co_ci_u32_e32 v8, vcc_lo, v2, v9, vcc_lo
	s_delay_alu instid0(VALU_DEP_4) | instskip(NEXT) | instid1(VALU_DEP_4)
	v_add_co_u32 v4, vcc_lo, v5, v4
	v_add_co_ci_u32_e32 v5, vcc_lo, 0, v6, vcc_lo
	s_delay_alu instid0(VALU_DEP_4) | instskip(NEXT) | instid1(VALU_DEP_3)
	v_xor_b32_e32 v10, v7, v9
	v_add_co_u32 v0, vcc_lo, v0, v4
	s_delay_alu instid0(VALU_DEP_3) | instskip(SKIP_1) | instid1(VALU_DEP_3)
	v_add_co_ci_u32_e32 v11, vcc_lo, v3, v5, vcc_lo
	v_xor_b32_e32 v12, v8, v9
	v_mul_hi_u32 v13, v10, v0
	s_delay_alu instid0(VALU_DEP_3) | instskip(NEXT) | instid1(VALU_DEP_3)
	v_mad_u64_u32 v[3:4], null, v10, v11, 0
	v_mad_u64_u32 v[5:6], null, v12, v0, 0
	;; [unrolled: 1-line block ×3, first 2 shown]
	s_delay_alu instid0(VALU_DEP_3) | instskip(NEXT) | instid1(VALU_DEP_4)
	v_add_co_u32 v0, vcc_lo, v13, v3
	v_add_co_ci_u32_e32 v3, vcc_lo, 0, v4, vcc_lo
	s_delay_alu instid0(VALU_DEP_2) | instskip(NEXT) | instid1(VALU_DEP_2)
	v_add_co_u32 v0, vcc_lo, v0, v5
	v_add_co_ci_u32_e32 v0, vcc_lo, v3, v6, vcc_lo
	v_add_co_ci_u32_e32 v3, vcc_lo, 0, v8, vcc_lo
	s_delay_alu instid0(VALU_DEP_2) | instskip(NEXT) | instid1(VALU_DEP_2)
	v_add_co_u32 v0, vcc_lo, v0, v7
	v_add_co_ci_u32_e32 v5, vcc_lo, 0, v3, vcc_lo
	s_delay_alu instid0(VALU_DEP_2) | instskip(SKIP_1) | instid1(VALU_DEP_3)
	v_mul_lo_u32 v6, s11, v0
	v_mad_u64_u32 v[3:4], null, s10, v0, 0
	v_mul_lo_u32 v7, s10, v5
	s_delay_alu instid0(VALU_DEP_2) | instskip(NEXT) | instid1(VALU_DEP_2)
	v_sub_co_u32 v3, vcc_lo, v10, v3
	v_add3_u32 v4, v4, v7, v6
	s_delay_alu instid0(VALU_DEP_1) | instskip(NEXT) | instid1(VALU_DEP_1)
	v_sub_nc_u32_e32 v6, v12, v4
	v_subrev_co_ci_u32_e64 v6, s2, s11, v6, vcc_lo
	v_add_co_u32 v7, s2, v0, 2
	s_delay_alu instid0(VALU_DEP_1) | instskip(SKIP_3) | instid1(VALU_DEP_3)
	v_add_co_ci_u32_e64 v8, s2, 0, v5, s2
	v_sub_co_u32 v10, s2, v3, s10
	v_sub_co_ci_u32_e32 v4, vcc_lo, v12, v4, vcc_lo
	v_subrev_co_ci_u32_e64 v6, s2, 0, v6, s2
	v_cmp_le_u32_e32 vcc_lo, s10, v10
	s_delay_alu instid0(VALU_DEP_3) | instskip(SKIP_1) | instid1(VALU_DEP_4)
	v_cmp_eq_u32_e64 s2, s11, v4
	v_cndmask_b32_e64 v10, 0, -1, vcc_lo
	v_cmp_le_u32_e32 vcc_lo, s11, v6
	v_cndmask_b32_e64 v11, 0, -1, vcc_lo
	v_cmp_le_u32_e32 vcc_lo, s10, v3
	;; [unrolled: 2-line block ×3, first 2 shown]
	v_cndmask_b32_e64 v12, 0, -1, vcc_lo
	v_cmp_eq_u32_e32 vcc_lo, s11, v6
	s_delay_alu instid0(VALU_DEP_2) | instskip(SKIP_3) | instid1(VALU_DEP_3)
	v_cndmask_b32_e64 v3, v12, v3, s2
	v_cndmask_b32_e32 v6, v11, v10, vcc_lo
	v_add_co_u32 v10, vcc_lo, v0, 1
	v_add_co_ci_u32_e32 v11, vcc_lo, 0, v5, vcc_lo
	v_cmp_ne_u32_e32 vcc_lo, 0, v6
	s_delay_alu instid0(VALU_DEP_2) | instskip(NEXT) | instid1(VALU_DEP_4)
	v_cndmask_b32_e32 v4, v11, v8, vcc_lo
	v_cndmask_b32_e32 v6, v10, v7, vcc_lo
	v_cmp_ne_u32_e32 vcc_lo, 0, v3
	v_xor_b32_e32 v7, s4, v9
	s_delay_alu instid0(VALU_DEP_3) | instskip(NEXT) | instid1(VALU_DEP_1)
	v_dual_cndmask_b32 v0, v0, v6 :: v_dual_cndmask_b32 v3, v5, v4
	v_xor_b32_e32 v0, v0, v7
	s_delay_alu instid0(VALU_DEP_2) | instskip(NEXT) | instid1(VALU_DEP_2)
	v_xor_b32_e32 v4, v3, v7
	v_sub_co_u32 v3, vcc_lo, v0, v7
	s_delay_alu instid0(VALU_DEP_2)
	v_sub_co_ci_u32_e32 v4, vcc_lo, v4, v7, vcc_lo
.LBB6_3:
	s_and_not1_saveexec_b32 s2, s13
	s_cbranch_execz .LBB6_5
; %bb.4:
	v_cvt_f32_u32_e32 v0, s8
	s_sub_i32 s4, 0, s8
	s_delay_alu instid0(VALU_DEP_1) | instskip(SKIP_2) | instid1(VALU_DEP_1)
	v_rcp_iflag_f32_e32 v0, v0
	s_waitcnt_depctr 0xfff
	v_mul_f32_e32 v0, 0x4f7ffffe, v0
	v_cvt_u32_f32_e32 v0, v0
	s_delay_alu instid0(VALU_DEP_1) | instskip(NEXT) | instid1(VALU_DEP_1)
	v_mul_lo_u32 v3, s4, v0
	v_mul_hi_u32 v3, v0, v3
	s_delay_alu instid0(VALU_DEP_1) | instskip(NEXT) | instid1(VALU_DEP_1)
	v_add_nc_u32_e32 v0, v0, v3
	v_mul_hi_u32 v0, v1, v0
	s_delay_alu instid0(VALU_DEP_1) | instskip(SKIP_1) | instid1(VALU_DEP_2)
	v_mul_lo_u32 v3, v0, s8
	v_add_nc_u32_e32 v4, 1, v0
	v_sub_nc_u32_e32 v3, v1, v3
	s_delay_alu instid0(VALU_DEP_1) | instskip(SKIP_1) | instid1(VALU_DEP_2)
	v_subrev_nc_u32_e32 v5, s8, v3
	v_cmp_le_u32_e32 vcc_lo, s8, v3
	v_dual_cndmask_b32 v3, v3, v5 :: v_dual_cndmask_b32 v0, v0, v4
	s_delay_alu instid0(VALU_DEP_1) | instskip(NEXT) | instid1(VALU_DEP_2)
	v_cmp_le_u32_e32 vcc_lo, s8, v3
	v_add_nc_u32_e32 v4, 1, v0
	s_delay_alu instid0(VALU_DEP_1)
	v_dual_cndmask_b32 v3, v0, v4 :: v_dual_mov_b32 v4, 0
.LBB6_5:
	s_or_b32 exec_lo, exec_lo, s2
	s_delay_alu instid0(VALU_DEP_1) | instskip(SKIP_1) | instid1(VALU_DEP_1)
	v_or_b32_e32 v6, s7, v4
	v_mov_b32_e32 v5, 0
	v_cmp_ne_u64_e32 vcc_lo, 0, v[5:6]
                                        ; implicit-def: $vgpr5_vgpr6
	s_and_saveexec_b32 s2, vcc_lo
	s_delay_alu instid0(SALU_CYCLE_1)
	s_xor_b32 s10, exec_lo, s2
	s_cbranch_execz .LBB6_7
; %bb.6:
	s_ashr_i32 s4, s7, 31
	s_delay_alu instid0(SALU_CYCLE_1) | instskip(SKIP_2) | instid1(SALU_CYCLE_1)
	s_add_u32 s16, s6, s4
	s_mov_b32 s5, s4
	s_addc_u32 s17, s7, s4
	s_xor_b64 s[4:5], s[16:17], s[4:5]
	s_delay_alu instid0(SALU_CYCLE_1) | instskip(SKIP_3) | instid1(VALU_DEP_1)
	v_cvt_f32_u32_e32 v0, s4
	v_cvt_f32_u32_e32 v5, s5
	s_sub_u32 s2, 0, s4
	s_subb_u32 s7, 0, s5
	v_fmamk_f32 v0, v5, 0x4f800000, v0
	s_delay_alu instid0(VALU_DEP_1) | instskip(SKIP_2) | instid1(VALU_DEP_1)
	v_rcp_f32_e32 v0, v0
	s_waitcnt_depctr 0xfff
	v_mul_f32_e32 v0, 0x5f7ffffc, v0
	v_mul_f32_e32 v5, 0x2f800000, v0
	s_delay_alu instid0(VALU_DEP_1) | instskip(NEXT) | instid1(VALU_DEP_1)
	v_trunc_f32_e32 v5, v5
	v_fmamk_f32 v0, v5, 0xcf800000, v0
	v_cvt_u32_f32_e32 v5, v5
	s_delay_alu instid0(VALU_DEP_2) | instskip(NEXT) | instid1(VALU_DEP_2)
	v_cvt_u32_f32_e32 v0, v0
	v_mul_lo_u32 v6, s2, v5
	s_delay_alu instid0(VALU_DEP_2) | instskip(SKIP_1) | instid1(VALU_DEP_2)
	v_mul_hi_u32 v7, s2, v0
	v_mul_lo_u32 v8, s7, v0
	v_add_nc_u32_e32 v6, v7, v6
	v_mul_lo_u32 v7, s2, v0
	s_delay_alu instid0(VALU_DEP_2) | instskip(NEXT) | instid1(VALU_DEP_2)
	v_add_nc_u32_e32 v6, v6, v8
	v_mul_hi_u32 v8, v0, v7
	s_delay_alu instid0(VALU_DEP_2)
	v_mul_lo_u32 v9, v0, v6
	v_mul_hi_u32 v10, v0, v6
	v_mul_hi_u32 v11, v5, v7
	v_mul_lo_u32 v7, v5, v7
	v_mul_hi_u32 v12, v5, v6
	v_mul_lo_u32 v6, v5, v6
	v_add_co_u32 v8, vcc_lo, v8, v9
	v_add_co_ci_u32_e32 v9, vcc_lo, 0, v10, vcc_lo
	s_delay_alu instid0(VALU_DEP_2) | instskip(NEXT) | instid1(VALU_DEP_2)
	v_add_co_u32 v7, vcc_lo, v8, v7
	v_add_co_ci_u32_e32 v7, vcc_lo, v9, v11, vcc_lo
	v_add_co_ci_u32_e32 v8, vcc_lo, 0, v12, vcc_lo
	v_ashrrev_i32_e32 v11, 31, v4
	s_delay_alu instid0(VALU_DEP_3) | instskip(NEXT) | instid1(VALU_DEP_3)
	v_add_co_u32 v6, vcc_lo, v7, v6
	v_add_co_ci_u32_e32 v7, vcc_lo, 0, v8, vcc_lo
	s_delay_alu instid0(VALU_DEP_2) | instskip(NEXT) | instid1(VALU_DEP_2)
	v_add_co_u32 v0, vcc_lo, v0, v6
	v_add_co_ci_u32_e32 v5, vcc_lo, v5, v7, vcc_lo
	s_delay_alu instid0(VALU_DEP_2) | instskip(SKIP_1) | instid1(VALU_DEP_3)
	v_mul_hi_u32 v6, s2, v0
	v_mul_lo_u32 v8, s7, v0
	v_mul_lo_u32 v7, s2, v5
	s_delay_alu instid0(VALU_DEP_1) | instskip(SKIP_1) | instid1(VALU_DEP_2)
	v_add_nc_u32_e32 v6, v6, v7
	v_mul_lo_u32 v7, s2, v0
	v_add_nc_u32_e32 v6, v6, v8
	s_delay_alu instid0(VALU_DEP_2) | instskip(NEXT) | instid1(VALU_DEP_2)
	v_mul_hi_u32 v8, v0, v7
	v_mul_lo_u32 v9, v0, v6
	v_mul_hi_u32 v10, v0, v6
	v_mul_hi_u32 v12, v5, v7
	v_mul_lo_u32 v7, v5, v7
	v_mul_hi_u32 v13, v5, v6
	v_mul_lo_u32 v6, v5, v6
	v_add_co_u32 v8, vcc_lo, v8, v9
	v_add_co_ci_u32_e32 v9, vcc_lo, 0, v10, vcc_lo
	s_delay_alu instid0(VALU_DEP_2) | instskip(NEXT) | instid1(VALU_DEP_2)
	v_add_co_u32 v7, vcc_lo, v8, v7
	v_add_co_ci_u32_e32 v7, vcc_lo, v9, v12, vcc_lo
	v_add_co_ci_u32_e32 v8, vcc_lo, 0, v13, vcc_lo
	v_add_co_u32 v9, vcc_lo, v3, v11
	v_add_co_ci_u32_e32 v10, vcc_lo, v4, v11, vcc_lo
	s_delay_alu instid0(VALU_DEP_4) | instskip(NEXT) | instid1(VALU_DEP_4)
	v_add_co_u32 v6, vcc_lo, v7, v6
	v_add_co_ci_u32_e32 v7, vcc_lo, 0, v8, vcc_lo
	s_delay_alu instid0(VALU_DEP_4) | instskip(NEXT) | instid1(VALU_DEP_3)
	v_xor_b32_e32 v12, v9, v11
	v_add_co_u32 v0, vcc_lo, v0, v6
	s_delay_alu instid0(VALU_DEP_3) | instskip(SKIP_1) | instid1(VALU_DEP_3)
	v_add_co_ci_u32_e32 v13, vcc_lo, v5, v7, vcc_lo
	v_xor_b32_e32 v14, v10, v11
	v_mul_hi_u32 v15, v12, v0
	s_delay_alu instid0(VALU_DEP_3) | instskip(NEXT) | instid1(VALU_DEP_3)
	v_mad_u64_u32 v[5:6], null, v12, v13, 0
	v_mad_u64_u32 v[7:8], null, v14, v0, 0
	;; [unrolled: 1-line block ×3, first 2 shown]
	s_delay_alu instid0(VALU_DEP_3) | instskip(NEXT) | instid1(VALU_DEP_4)
	v_add_co_u32 v0, vcc_lo, v15, v5
	v_add_co_ci_u32_e32 v5, vcc_lo, 0, v6, vcc_lo
	s_delay_alu instid0(VALU_DEP_2) | instskip(NEXT) | instid1(VALU_DEP_2)
	v_add_co_u32 v0, vcc_lo, v0, v7
	v_add_co_ci_u32_e32 v0, vcc_lo, v5, v8, vcc_lo
	v_add_co_ci_u32_e32 v5, vcc_lo, 0, v10, vcc_lo
	s_delay_alu instid0(VALU_DEP_2) | instskip(NEXT) | instid1(VALU_DEP_2)
	v_add_co_u32 v0, vcc_lo, v0, v9
	v_add_co_ci_u32_e32 v7, vcc_lo, 0, v5, vcc_lo
	s_delay_alu instid0(VALU_DEP_2) | instskip(SKIP_1) | instid1(VALU_DEP_3)
	v_mul_lo_u32 v8, s5, v0
	v_mad_u64_u32 v[5:6], null, s4, v0, 0
	v_mul_lo_u32 v0, s4, v7
	s_delay_alu instid0(VALU_DEP_2) | instskip(NEXT) | instid1(VALU_DEP_2)
	v_sub_co_u32 v5, vcc_lo, v12, v5
	v_add3_u32 v0, v6, v0, v8
	s_delay_alu instid0(VALU_DEP_1) | instskip(NEXT) | instid1(VALU_DEP_1)
	v_sub_nc_u32_e32 v6, v14, v0
	v_subrev_co_ci_u32_e64 v6, s2, s5, v6, vcc_lo
	s_delay_alu instid0(VALU_DEP_4) | instskip(SKIP_1) | instid1(VALU_DEP_3)
	v_sub_co_u32 v7, s2, v5, s4
	v_sub_co_ci_u32_e32 v0, vcc_lo, v14, v0, vcc_lo
	v_subrev_co_ci_u32_e64 v6, s2, 0, v6, s2
	s_delay_alu instid0(VALU_DEP_3) | instskip(SKIP_1) | instid1(VALU_DEP_3)
	v_cmp_le_u32_e32 vcc_lo, s4, v7
	v_cndmask_b32_e64 v8, 0, -1, vcc_lo
	v_cmp_le_u32_e32 vcc_lo, s5, v6
	v_cndmask_b32_e64 v9, 0, -1, vcc_lo
	;; [unrolled: 2-line block ×4, first 2 shown]
	v_cmp_eq_u32_e32 vcc_lo, s5, v6
	v_cndmask_b32_e32 v6, v9, v8, vcc_lo
	v_sub_co_u32 v8, vcc_lo, v7, s4
	v_cmp_eq_u32_e32 vcc_lo, s5, v0
	v_cndmask_b32_e32 v0, v12, v10, vcc_lo
	s_delay_alu instid0(VALU_DEP_4) | instskip(NEXT) | instid1(VALU_DEP_4)
	v_cmp_ne_u32_e32 vcc_lo, 0, v6
	v_cndmask_b32_e32 v6, v7, v8, vcc_lo
	s_delay_alu instid0(VALU_DEP_3) | instskip(NEXT) | instid1(VALU_DEP_2)
	v_cmp_ne_u32_e32 vcc_lo, 0, v0
	v_cndmask_b32_e32 v0, v5, v6, vcc_lo
	s_delay_alu instid0(VALU_DEP_1) | instskip(NEXT) | instid1(VALU_DEP_1)
	v_xor_b32_e32 v0, v0, v11
	v_sub_co_u32 v5, vcc_lo, v0, v11
.LBB6_7:
	s_and_not1_saveexec_b32 s2, s10
	s_cbranch_execz .LBB6_9
; %bb.8:
	v_cvt_f32_u32_e32 v0, s6
	s_sub_i32 s4, 0, s6
	s_delay_alu instid0(VALU_DEP_1) | instskip(SKIP_2) | instid1(VALU_DEP_1)
	v_rcp_iflag_f32_e32 v0, v0
	s_waitcnt_depctr 0xfff
	v_mul_f32_e32 v0, 0x4f7ffffe, v0
	v_cvt_u32_f32_e32 v0, v0
	s_delay_alu instid0(VALU_DEP_1) | instskip(NEXT) | instid1(VALU_DEP_1)
	v_mul_lo_u32 v5, s4, v0
	v_mul_hi_u32 v5, v0, v5
	s_delay_alu instid0(VALU_DEP_1) | instskip(NEXT) | instid1(VALU_DEP_1)
	v_add_nc_u32_e32 v0, v0, v5
	v_mul_hi_u32 v0, v3, v0
	s_delay_alu instid0(VALU_DEP_1) | instskip(NEXT) | instid1(VALU_DEP_1)
	v_mul_lo_u32 v0, v0, s6
	v_sub_nc_u32_e32 v0, v3, v0
	s_delay_alu instid0(VALU_DEP_1) | instskip(SKIP_1) | instid1(VALU_DEP_2)
	v_subrev_nc_u32_e32 v5, s6, v0
	v_cmp_le_u32_e32 vcc_lo, s6, v0
	v_cndmask_b32_e32 v0, v0, v5, vcc_lo
	s_delay_alu instid0(VALU_DEP_1) | instskip(SKIP_1) | instid1(VALU_DEP_2)
	v_subrev_nc_u32_e32 v5, s6, v0
	v_cmp_le_u32_e32 vcc_lo, s6, v0
	v_cndmask_b32_e32 v5, v0, v5, vcc_lo
.LBB6_9:
	s_or_b32 exec_lo, exec_lo, s2
	v_or_b32_e32 v7, s12, v2
	v_mov_b32_e32 v6, 0
	s_delay_alu instid0(VALU_DEP_1) | instskip(SKIP_1) | instid1(SALU_CYCLE_1)
	v_cmp_ne_u64_e32 vcc_lo, 0, v[6:7]
                                        ; implicit-def: $vgpr6_vgpr7
	s_and_saveexec_b32 s2, vcc_lo
	s_xor_b32 s10, exec_lo, s2
	s_cbranch_execz .LBB6_11
; %bb.10:
	s_ashr_i32 s4, s12, 31
	s_delay_alu instid0(SALU_CYCLE_1) | instskip(SKIP_2) | instid1(SALU_CYCLE_1)
	s_add_u32 s6, s3, s4
	s_mov_b32 s5, s4
	s_addc_u32 s7, s12, s4
	s_xor_b64 s[6:7], s[6:7], s[4:5]
	s_delay_alu instid0(SALU_CYCLE_1) | instskip(SKIP_3) | instid1(VALU_DEP_1)
	v_cvt_f32_u32_e32 v0, s6
	v_cvt_f32_u32_e32 v6, s7
	s_sub_u32 s2, 0, s6
	s_subb_u32 s5, 0, s7
	v_fmamk_f32 v0, v6, 0x4f800000, v0
	s_delay_alu instid0(VALU_DEP_1) | instskip(SKIP_2) | instid1(VALU_DEP_1)
	v_rcp_f32_e32 v0, v0
	s_waitcnt_depctr 0xfff
	v_mul_f32_e32 v0, 0x5f7ffffc, v0
	v_mul_f32_e32 v6, 0x2f800000, v0
	s_delay_alu instid0(VALU_DEP_1) | instskip(NEXT) | instid1(VALU_DEP_1)
	v_trunc_f32_e32 v6, v6
	v_fmamk_f32 v0, v6, 0xcf800000, v0
	v_cvt_u32_f32_e32 v6, v6
	s_delay_alu instid0(VALU_DEP_2) | instskip(NEXT) | instid1(VALU_DEP_2)
	v_cvt_u32_f32_e32 v0, v0
	v_mul_lo_u32 v7, s2, v6
	s_delay_alu instid0(VALU_DEP_2) | instskip(SKIP_1) | instid1(VALU_DEP_2)
	v_mul_hi_u32 v8, s2, v0
	v_mul_lo_u32 v9, s5, v0
	v_add_nc_u32_e32 v7, v8, v7
	v_mul_lo_u32 v8, s2, v0
	s_delay_alu instid0(VALU_DEP_2) | instskip(NEXT) | instid1(VALU_DEP_2)
	v_add_nc_u32_e32 v7, v7, v9
	v_mul_hi_u32 v9, v0, v8
	s_delay_alu instid0(VALU_DEP_2)
	v_mul_lo_u32 v10, v0, v7
	v_mul_hi_u32 v11, v0, v7
	v_mul_hi_u32 v12, v6, v8
	v_mul_lo_u32 v8, v6, v8
	v_mul_hi_u32 v13, v6, v7
	v_mul_lo_u32 v7, v6, v7
	v_add_co_u32 v9, vcc_lo, v9, v10
	v_add_co_ci_u32_e32 v10, vcc_lo, 0, v11, vcc_lo
	s_delay_alu instid0(VALU_DEP_2) | instskip(NEXT) | instid1(VALU_DEP_2)
	v_add_co_u32 v8, vcc_lo, v9, v8
	v_add_co_ci_u32_e32 v8, vcc_lo, v10, v12, vcc_lo
	v_add_co_ci_u32_e32 v9, vcc_lo, 0, v13, vcc_lo
	v_mov_b32_e32 v12, v2
	s_delay_alu instid0(VALU_DEP_3) | instskip(NEXT) | instid1(VALU_DEP_3)
	v_add_co_u32 v7, vcc_lo, v8, v7
	v_add_co_ci_u32_e32 v8, vcc_lo, 0, v9, vcc_lo
	v_mov_b32_e32 v13, v2
	s_delay_alu instid0(VALU_DEP_3) | instskip(NEXT) | instid1(VALU_DEP_3)
	v_add_co_u32 v0, vcc_lo, v0, v7
	v_add_co_ci_u32_e32 v6, vcc_lo, v6, v8, vcc_lo
	s_delay_alu instid0(VALU_DEP_2) | instskip(SKIP_1) | instid1(VALU_DEP_3)
	v_mul_hi_u32 v7, s2, v0
	v_mul_lo_u32 v9, s5, v0
	v_mul_lo_u32 v8, s2, v6
	s_delay_alu instid0(VALU_DEP_1) | instskip(SKIP_1) | instid1(VALU_DEP_2)
	v_add_nc_u32_e32 v7, v7, v8
	v_mul_lo_u32 v8, s2, v0
	v_add_nc_u32_e32 v7, v7, v9
	s_delay_alu instid0(VALU_DEP_2) | instskip(NEXT) | instid1(VALU_DEP_2)
	v_mul_hi_u32 v9, v0, v8
	v_mul_lo_u32 v10, v0, v7
	v_mul_hi_u32 v11, v0, v7
	v_mul_hi_u32 v14, v6, v8
	v_mul_lo_u32 v8, v6, v8
	v_mul_hi_u32 v15, v6, v7
	v_mul_lo_u32 v7, v6, v7
	v_add_co_u32 v9, vcc_lo, v9, v10
	v_add_co_ci_u32_e32 v10, vcc_lo, 0, v11, vcc_lo
	s_delay_alu instid0(VALU_DEP_2) | instskip(NEXT) | instid1(VALU_DEP_2)
	v_add_co_u32 v8, vcc_lo, v9, v8
	v_add_co_ci_u32_e32 v8, vcc_lo, v10, v14, vcc_lo
	v_add_co_ci_u32_e32 v9, vcc_lo, 0, v15, vcc_lo
	v_add_co_u32 v10, vcc_lo, v1, v12
	v_add_co_ci_u32_e32 v11, vcc_lo, v2, v13, vcc_lo
	s_delay_alu instid0(VALU_DEP_4) | instskip(NEXT) | instid1(VALU_DEP_4)
	v_add_co_u32 v7, vcc_lo, v8, v7
	v_add_co_ci_u32_e32 v8, vcc_lo, 0, v9, vcc_lo
	s_delay_alu instid0(VALU_DEP_4) | instskip(NEXT) | instid1(VALU_DEP_3)
	v_xor_b32_e32 v14, v10, v12
	v_add_co_u32 v0, vcc_lo, v0, v7
	s_delay_alu instid0(VALU_DEP_3) | instskip(SKIP_1) | instid1(VALU_DEP_3)
	v_add_co_ci_u32_e32 v15, vcc_lo, v6, v8, vcc_lo
	v_xor_b32_e32 v13, v11, v13
	v_mul_hi_u32 v16, v14, v0
	s_delay_alu instid0(VALU_DEP_3) | instskip(NEXT) | instid1(VALU_DEP_3)
	v_mad_u64_u32 v[6:7], null, v14, v15, 0
	v_mad_u64_u32 v[8:9], null, v13, v0, 0
	v_mad_u64_u32 v[10:11], null, v13, v15, 0
	s_delay_alu instid0(VALU_DEP_3) | instskip(NEXT) | instid1(VALU_DEP_4)
	v_add_co_u32 v0, vcc_lo, v16, v6
	v_add_co_ci_u32_e32 v6, vcc_lo, 0, v7, vcc_lo
	s_delay_alu instid0(VALU_DEP_2) | instskip(NEXT) | instid1(VALU_DEP_2)
	v_add_co_u32 v0, vcc_lo, v0, v8
	v_add_co_ci_u32_e32 v0, vcc_lo, v6, v9, vcc_lo
	v_add_co_ci_u32_e32 v6, vcc_lo, 0, v11, vcc_lo
	s_delay_alu instid0(VALU_DEP_2) | instskip(NEXT) | instid1(VALU_DEP_2)
	v_add_co_u32 v0, vcc_lo, v0, v10
	v_add_co_ci_u32_e32 v8, vcc_lo, 0, v6, vcc_lo
	s_delay_alu instid0(VALU_DEP_2) | instskip(SKIP_1) | instid1(VALU_DEP_3)
	v_mul_lo_u32 v9, s7, v0
	v_mad_u64_u32 v[6:7], null, s6, v0, 0
	v_mul_lo_u32 v8, s6, v8
	s_delay_alu instid0(VALU_DEP_2) | instskip(NEXT) | instid1(VALU_DEP_2)
	v_sub_co_u32 v6, vcc_lo, v14, v6
	v_add3_u32 v7, v7, v8, v9
	v_add_co_u32 v9, s2, v0, 2
	s_delay_alu instid0(VALU_DEP_2) | instskip(NEXT) | instid1(VALU_DEP_1)
	v_sub_nc_u32_e32 v8, v13, v7
	v_subrev_co_ci_u32_e64 v8, s2, s7, v8, vcc_lo
	v_sub_co_u32 v10, s2, v6, s6
	v_sub_co_ci_u32_e32 v7, vcc_lo, v13, v7, vcc_lo
	s_delay_alu instid0(VALU_DEP_3) | instskip(NEXT) | instid1(VALU_DEP_3)
	v_subrev_co_ci_u32_e64 v8, s2, 0, v8, s2
	v_cmp_le_u32_e32 vcc_lo, s6, v10
	v_cndmask_b32_e64 v10, 0, -1, vcc_lo
	s_delay_alu instid0(VALU_DEP_3)
	v_cmp_le_u32_e32 vcc_lo, s7, v8
	v_cndmask_b32_e64 v11, 0, -1, vcc_lo
	v_cmp_le_u32_e32 vcc_lo, s6, v6
	v_cndmask_b32_e64 v6, 0, -1, vcc_lo
	;; [unrolled: 2-line block ×3, first 2 shown]
	v_cmp_eq_u32_e32 vcc_lo, s7, v8
	v_cndmask_b32_e32 v8, v11, v10, vcc_lo
	v_add_co_u32 v10, vcc_lo, v0, 1
	v_cmp_eq_u32_e32 vcc_lo, s7, v7
	v_cndmask_b32_e32 v6, v13, v6, vcc_lo
	s_delay_alu instid0(VALU_DEP_4) | instskip(NEXT) | instid1(VALU_DEP_4)
	v_cmp_ne_u32_e32 vcc_lo, 0, v8
	v_cndmask_b32_e32 v7, v10, v9, vcc_lo
	s_delay_alu instid0(VALU_DEP_3) | instskip(SKIP_1) | instid1(VALU_DEP_3)
	v_cmp_ne_u32_e32 vcc_lo, 0, v6
	v_xor_b32_e32 v6, s4, v12
	v_cndmask_b32_e32 v0, v0, v7, vcc_lo
	s_delay_alu instid0(VALU_DEP_1) | instskip(NEXT) | instid1(VALU_DEP_1)
	v_xor_b32_e32 v0, v0, v6
	v_sub_co_u32 v6, vcc_lo, v0, v6
.LBB6_11:
	s_and_not1_saveexec_b32 s2, s10
	s_cbranch_execz .LBB6_13
; %bb.12:
	v_cvt_f32_u32_e32 v0, s3
	s_sub_i32 s4, 0, s3
	s_delay_alu instid0(VALU_DEP_1) | instskip(SKIP_2) | instid1(VALU_DEP_1)
	v_rcp_iflag_f32_e32 v0, v0
	s_waitcnt_depctr 0xfff
	v_mul_f32_e32 v0, 0x4f7ffffe, v0
	v_cvt_u32_f32_e32 v0, v0
	s_delay_alu instid0(VALU_DEP_1) | instskip(NEXT) | instid1(VALU_DEP_1)
	v_mul_lo_u32 v6, s4, v0
	v_mul_hi_u32 v6, v0, v6
	s_delay_alu instid0(VALU_DEP_1) | instskip(NEXT) | instid1(VALU_DEP_1)
	v_add_nc_u32_e32 v0, v0, v6
	v_mul_hi_u32 v0, v1, v0
	s_delay_alu instid0(VALU_DEP_1) | instskip(SKIP_1) | instid1(VALU_DEP_2)
	v_mul_lo_u32 v6, v0, s3
	v_add_nc_u32_e32 v7, 1, v0
	v_sub_nc_u32_e32 v6, v1, v6
	s_delay_alu instid0(VALU_DEP_1) | instskip(SKIP_1) | instid1(VALU_DEP_2)
	v_subrev_nc_u32_e32 v8, s3, v6
	v_cmp_le_u32_e32 vcc_lo, s3, v6
	v_cndmask_b32_e32 v6, v6, v8, vcc_lo
	v_cndmask_b32_e32 v0, v0, v7, vcc_lo
	s_delay_alu instid0(VALU_DEP_2) | instskip(NEXT) | instid1(VALU_DEP_2)
	v_cmp_le_u32_e32 vcc_lo, s3, v6
	v_add_nc_u32_e32 v7, 1, v0
	s_delay_alu instid0(VALU_DEP_1)
	v_cndmask_b32_e32 v6, v0, v7, vcc_lo
.LBB6_13:
	s_or_b32 exec_lo, exec_lo, s2
	s_clause 0x3
	s_load_b32 s12, s[0:1], 0xc0
	s_load_b128 s[36:39], s[0:1], 0xb0
	s_load_b512 s[16:31], s[0:1], 0x18
	s_load_b64 s[2:3], s[0:1], 0xa8
	v_mul_lo_u32 v0, v4, s8
	v_mul_lo_u32 v4, v3, s9
	v_mad_u64_u32 v[7:8], null, v3, s8, 0
	s_load_b256 s[4:11], s[0:1], 0x88
	v_ashrrev_i32_e32 v10, 31, v5
	s_delay_alu instid0(VALU_DEP_2) | instskip(NEXT) | instid1(VALU_DEP_3)
	v_add3_u32 v0, v8, v4, v0
	v_sub_co_u32 v4, vcc_lo, v1, v7
	v_ashrrev_i32_e32 v1, 31, v6
	s_delay_alu instid0(VALU_DEP_3)
	v_sub_co_ci_u32_e32 v7, vcc_lo, v2, v0, vcc_lo
	s_waitcnt lgkmcnt(0)
	s_add_i32 s15, s15, s12
	s_sub_i32 s12, 0, s38
	s_sub_i32 s13, 0, s37
	s_max_i32 s21, s12, 0
	s_max_i32 s33, s13, 0
	s_load_b64 s[12:13], s[0:1], 0x58
	s_add_i32 s20, s38, s20
	s_max_i32 s19, s38, 0
	s_add_i32 s20, s20, -1
	s_sub_i32 s19, s21, s19
	v_maxmin_i32 v0, s38, v4, s20
	s_ashr_i32 s20, s15, 31
	s_mul_hi_u32 s38, s4, s15
	s_mul_i32 s21, s4, s20
	s_mul_i32 s5, s5, s15
	s_add_i32 s21, s38, s21
	v_add_nc_u32_e32 v8, s19, v0
	v_mul_lo_u32 v2, s9, v6
	v_mul_lo_u32 v3, s8, v1
	v_mad_u64_u32 v[0:1], null, s8, v6, 0
	s_sub_i32 s17, 0, s36
	s_add_i32 s5, s21, s5
	s_mul_i32 s4, s4, s15
	s_max_i32 s17, s17, 0
	s_max_i32 s34, s37, 0
	;; [unrolled: 1-line block ×3, first 2 shown]
	s_add_i32 s18, s37, s18
	s_add_i32 s16, s36, s16
	s_lshl_b64 s[4:5], s[4:5], 3
	s_add_i32 s14, s14, s39
	s_add_i32 s18, s18, -1
	s_sub_i32 s33, s33, s34
	s_add_i32 s16, s16, -1
	s_sub_i32 s17, s17, s35
	s_waitcnt lgkmcnt(0)
	s_add_u32 s12, s12, s4
	s_addc_u32 s13, s13, s5
	s_ashr_i32 s21, s14, 31
	v_add3_u32 v1, v1, v3, v2
	v_mul_lo_u32 v11, s11, v5
	v_mul_lo_u32 v10, s10, v10
	v_mad_u64_u32 v[2:3], null, s10, v5, 0
	s_mul_i32 s4, s6, s21
	s_mul_hi_u32 s5, s6, s14
	v_lshlrev_b64 v[0:1], 3, v[0:1]
	s_add_i32 s4, s5, s4
	s_mul_i32 s5, s7, s14
	v_maxmin_i32 v6, s36, v6, s16
	s_add_i32 s5, s4, s5
	s_mul_i32 s4, s6, s14
	v_add3_u32 v3, v3, v10, v11
	s_lshl_b64 s[4:5], s[4:5], 3
	v_maxmin_i32 v9, s37, v5, s18
	s_add_u32 s4, s12, s4
	v_add_nc_u32_e32 v5, s17, v6
	s_addc_u32 s5, s13, s5
	v_add_co_u32 v6, vcc_lo, s4, v0
	s_load_b64 s[0:1], s[0:1], 0x0
	v_add_co_ci_u32_e32 v10, vcc_lo, s5, v1, vcc_lo
	v_lshlrev_b64 v[0:1], 3, v[2:3]
	v_mul_lo_u32 v11, s3, v4
	v_mul_lo_u32 v7, s2, v7
	v_mad_u64_u32 v[2:3], null, s2, v4, 0
	v_add_nc_u32_e32 v9, s33, v9
	v_add_co_u32 v12, vcc_lo, v6, v0
	v_ashrrev_i32_e32 v0, 31, v5
	s_mul_i32 s3, s22, s20
	s_mul_hi_u32 s4, s22, s15
	v_add_co_ci_u32_e32 v10, vcc_lo, v10, v1, vcc_lo
	v_add3_u32 v3, v3, v7, v11
	v_mul_lo_u32 v6, s26, v0
	v_mul_lo_u32 v7, s27, v5
	v_ashrrev_i32_e32 v4, 31, v9
	v_mad_u64_u32 v[0:1], null, s26, v5, 0
	s_add_i32 s2, s4, s3
	s_mul_i32 s3, s23, s15
	s_delay_alu instid0(VALU_DEP_2)
	v_mul_lo_u32 v11, s28, v4
	s_add_i32 s3, s2, s3
	s_mul_i32 s2, s22, s15
	v_mul_lo_u32 v13, s29, v9
	v_mad_u64_u32 v[4:5], null, s28, v9, 0
	s_lshl_b64 s[2:3], s[2:3], 3
	v_add3_u32 v1, v1, v6, v7
	s_waitcnt lgkmcnt(0)
	s_add_u32 s2, s0, s2
	v_ashrrev_i32_e32 v6, 31, v8
	s_addc_u32 s3, s1, s3
	s_mul_i32 s0, s24, s21
	s_mul_hi_u32 s1, s24, s14
	v_lshlrev_b64 v[0:1], 3, v[0:1]
	s_add_i32 s0, s1, s0
	s_mul_i32 s1, s25, s14
	v_add3_u32 v5, v5, v11, v13
	s_add_i32 s1, s0, s1
	s_mul_i32 s0, s24, s14
	v_mul_lo_u32 v9, s30, v6
	v_mul_lo_u32 v11, s31, v8
	v_mad_u64_u32 v[6:7], null, s30, v8, 0
	s_lshl_b64 s[0:1], s[0:1], 3
	v_lshlrev_b64 v[4:5], 3, v[4:5]
	s_add_u32 s0, s2, s0
	s_addc_u32 s1, s3, s1
	v_add_co_u32 v0, vcc_lo, s0, v0
	v_add_co_ci_u32_e32 v1, vcc_lo, s1, v1, vcc_lo
	s_delay_alu instid0(VALU_DEP_4) | instskip(SKIP_1) | instid1(VALU_DEP_4)
	v_add3_u32 v7, v7, v9, v11
	v_lshlrev_b64 v[2:3], 3, v[2:3]
	v_add_co_u32 v4, vcc_lo, v0, v4
	s_delay_alu instid0(VALU_DEP_4) | instskip(NEXT) | instid1(VALU_DEP_4)
	v_add_co_ci_u32_e32 v5, vcc_lo, v1, v5, vcc_lo
	v_lshlrev_b64 v[0:1], 3, v[6:7]
	s_delay_alu instid0(VALU_DEP_4) | instskip(SKIP_2) | instid1(VALU_DEP_3)
	v_add_co_u32 v2, vcc_lo, v12, v2
	v_add_co_ci_u32_e32 v3, vcc_lo, v10, v3, vcc_lo
	s_mov_b32 s0, 0
	v_add_co_u32 v4, vcc_lo, v4, v0
	s_delay_alu instid0(VALU_DEP_4)
	v_add_co_ci_u32_e32 v5, vcc_lo, v5, v1, vcc_lo
	global_load_b64 v[6:7], v[2:3], off
	global_load_b64 v[2:3], v[4:5], off
.LBB6_14:                               ; =>This Inner Loop Header: Depth=1
	s_waitcnt vmcnt(0)
	v_add_f64 v[0:1], v[2:3], v[6:7]
	global_atomic_cmpswap_b64 v[0:1], v[4:5], v[0:3], off glc
	s_waitcnt vmcnt(0)
	v_cmp_eq_u64_e32 vcc_lo, v[0:1], v[2:3]
	v_dual_mov_b32 v3, v1 :: v_dual_mov_b32 v2, v0
	s_or_b32 s0, vcc_lo, s0
	s_delay_alu instid0(SALU_CYCLE_1)
	s_and_not1_b32 exec_lo, exec_lo, s0
	s_cbranch_execnz .LBB6_14
.LBB6_15:
	s_endpgm
	.section	.rodata,"a",@progbits
	.p2align	6, 0x0
	.amdhsa_kernel _ZN2at6native12_GLOBAL__N_131replication_pad_backward_kernelIdEEvN5torch10headeronly6detail27GenericPackedTensorAccessorINS5_14TensorAccessorIN3c108ArrayRefIlEET_Lm4ENS4_16DefaultPtrTraitsElEENS_6detail16IndexBoundsCheckILm5ElEESB_Lm5ESC_lEENS6_INS7_ISA_KSB_Lm4ESC_lEESG_SI_Lm5ESC_lEEiiiii
		.amdhsa_group_segment_fixed_size 0
		.amdhsa_private_segment_fixed_size 0
		.amdhsa_kernarg_size 456
		.amdhsa_user_sgpr_count 13
		.amdhsa_user_sgpr_dispatch_ptr 0
		.amdhsa_user_sgpr_queue_ptr 0
		.amdhsa_user_sgpr_kernarg_segment_ptr 1
		.amdhsa_user_sgpr_dispatch_id 0
		.amdhsa_user_sgpr_private_segment_size 0
		.amdhsa_wavefront_size32 1
		.amdhsa_uses_dynamic_stack 0
		.amdhsa_enable_private_segment 0
		.amdhsa_system_sgpr_workgroup_id_x 1
		.amdhsa_system_sgpr_workgroup_id_y 1
		.amdhsa_system_sgpr_workgroup_id_z 1
		.amdhsa_system_sgpr_workgroup_info 0
		.amdhsa_system_vgpr_workitem_id 0
		.amdhsa_next_free_vgpr 17
		.amdhsa_next_free_sgpr 40
		.amdhsa_reserve_vcc 1
		.amdhsa_float_round_mode_32 0
		.amdhsa_float_round_mode_16_64 0
		.amdhsa_float_denorm_mode_32 3
		.amdhsa_float_denorm_mode_16_64 3
		.amdhsa_dx10_clamp 1
		.amdhsa_ieee_mode 1
		.amdhsa_fp16_overflow 0
		.amdhsa_workgroup_processor_mode 1
		.amdhsa_memory_ordered 1
		.amdhsa_forward_progress 0
		.amdhsa_shared_vgpr_count 0
		.amdhsa_exception_fp_ieee_invalid_op 0
		.amdhsa_exception_fp_denorm_src 0
		.amdhsa_exception_fp_ieee_div_zero 0
		.amdhsa_exception_fp_ieee_overflow 0
		.amdhsa_exception_fp_ieee_underflow 0
		.amdhsa_exception_fp_ieee_inexact 0
		.amdhsa_exception_int_div_zero 0
	.end_amdhsa_kernel
	.section	.text._ZN2at6native12_GLOBAL__N_131replication_pad_backward_kernelIdEEvN5torch10headeronly6detail27GenericPackedTensorAccessorINS5_14TensorAccessorIN3c108ArrayRefIlEET_Lm4ENS4_16DefaultPtrTraitsElEENS_6detail16IndexBoundsCheckILm5ElEESB_Lm5ESC_lEENS6_INS7_ISA_KSB_Lm4ESC_lEESG_SI_Lm5ESC_lEEiiiii,"axG",@progbits,_ZN2at6native12_GLOBAL__N_131replication_pad_backward_kernelIdEEvN5torch10headeronly6detail27GenericPackedTensorAccessorINS5_14TensorAccessorIN3c108ArrayRefIlEET_Lm4ENS4_16DefaultPtrTraitsElEENS_6detail16IndexBoundsCheckILm5ElEESB_Lm5ESC_lEENS6_INS7_ISA_KSB_Lm4ESC_lEESG_SI_Lm5ESC_lEEiiiii,comdat
.Lfunc_end6:
	.size	_ZN2at6native12_GLOBAL__N_131replication_pad_backward_kernelIdEEvN5torch10headeronly6detail27GenericPackedTensorAccessorINS5_14TensorAccessorIN3c108ArrayRefIlEET_Lm4ENS4_16DefaultPtrTraitsElEENS_6detail16IndexBoundsCheckILm5ElEESB_Lm5ESC_lEENS6_INS7_ISA_KSB_Lm4ESC_lEESG_SI_Lm5ESC_lEEiiiii, .Lfunc_end6-_ZN2at6native12_GLOBAL__N_131replication_pad_backward_kernelIdEEvN5torch10headeronly6detail27GenericPackedTensorAccessorINS5_14TensorAccessorIN3c108ArrayRefIlEET_Lm4ENS4_16DefaultPtrTraitsElEENS_6detail16IndexBoundsCheckILm5ElEESB_Lm5ESC_lEENS6_INS7_ISA_KSB_Lm4ESC_lEESG_SI_Lm5ESC_lEEiiiii
                                        ; -- End function
	.section	.AMDGPU.csdata,"",@progbits
; Kernel info:
; codeLenInByte = 3828
; NumSgprs: 42
; NumVgprs: 17
; ScratchSize: 0
; MemoryBound: 0
; FloatMode: 240
; IeeeMode: 1
; LDSByteSize: 0 bytes/workgroup (compile time only)
; SGPRBlocks: 5
; VGPRBlocks: 2
; NumSGPRsForWavesPerEU: 42
; NumVGPRsForWavesPerEU: 17
; Occupancy: 16
; WaveLimiterHint : 1
; COMPUTE_PGM_RSRC2:SCRATCH_EN: 0
; COMPUTE_PGM_RSRC2:USER_SGPR: 13
; COMPUTE_PGM_RSRC2:TRAP_HANDLER: 0
; COMPUTE_PGM_RSRC2:TGID_X_EN: 1
; COMPUTE_PGM_RSRC2:TGID_Y_EN: 1
; COMPUTE_PGM_RSRC2:TGID_Z_EN: 1
; COMPUTE_PGM_RSRC2:TIDIG_COMP_CNT: 0
	.section	.text._ZN2at6native12_GLOBAL__N_131replication_pad_backward_kernelIfEEvN5torch10headeronly6detail27GenericPackedTensorAccessorINS5_14TensorAccessorIN3c108ArrayRefIlEET_Lm4ENS4_16DefaultPtrTraitsElEENS_6detail16IndexBoundsCheckILm5ElEESB_Lm5ESC_lEENS6_INS7_ISA_KSB_Lm4ESC_lEESG_SI_Lm5ESC_lEEiiiii,"axG",@progbits,_ZN2at6native12_GLOBAL__N_131replication_pad_backward_kernelIfEEvN5torch10headeronly6detail27GenericPackedTensorAccessorINS5_14TensorAccessorIN3c108ArrayRefIlEET_Lm4ENS4_16DefaultPtrTraitsElEENS_6detail16IndexBoundsCheckILm5ElEESB_Lm5ESC_lEENS6_INS7_ISA_KSB_Lm4ESC_lEESG_SI_Lm5ESC_lEEiiiii,comdat
	.globl	_ZN2at6native12_GLOBAL__N_131replication_pad_backward_kernelIfEEvN5torch10headeronly6detail27GenericPackedTensorAccessorINS5_14TensorAccessorIN3c108ArrayRefIlEET_Lm4ENS4_16DefaultPtrTraitsElEENS_6detail16IndexBoundsCheckILm5ElEESB_Lm5ESC_lEENS6_INS7_ISA_KSB_Lm4ESC_lEESG_SI_Lm5ESC_lEEiiiii ; -- Begin function _ZN2at6native12_GLOBAL__N_131replication_pad_backward_kernelIfEEvN5torch10headeronly6detail27GenericPackedTensorAccessorINS5_14TensorAccessorIN3c108ArrayRefIlEET_Lm4ENS4_16DefaultPtrTraitsElEENS_6detail16IndexBoundsCheckILm5ElEESB_Lm5ESC_lEENS6_INS7_ISA_KSB_Lm4ESC_lEESG_SI_Lm5ESC_lEEiiiii
	.p2align	8
	.type	_ZN2at6native12_GLOBAL__N_131replication_pad_backward_kernelIfEEvN5torch10headeronly6detail27GenericPackedTensorAccessorINS5_14TensorAccessorIN3c108ArrayRefIlEET_Lm4ENS4_16DefaultPtrTraitsElEENS_6detail16IndexBoundsCheckILm5ElEESB_Lm5ESC_lEENS6_INS7_ISA_KSB_Lm4ESC_lEESG_SI_Lm5ESC_lEEiiiii,@function
_ZN2at6native12_GLOBAL__N_131replication_pad_backward_kernelIfEEvN5torch10headeronly6detail27GenericPackedTensorAccessorINS5_14TensorAccessorIN3c108ArrayRefIlEET_Lm4ENS4_16DefaultPtrTraitsElEENS_6detail16IndexBoundsCheckILm5ElEESB_Lm5ESC_lEENS6_INS7_ISA_KSB_Lm4ESC_lEESG_SI_Lm5ESC_lEEiiiii: ; @_ZN2at6native12_GLOBAL__N_131replication_pad_backward_kernelIfEEvN5torch10headeronly6detail27GenericPackedTensorAccessorINS5_14TensorAccessorIN3c108ArrayRefIlEET_Lm4ENS4_16DefaultPtrTraitsElEENS_6detail16IndexBoundsCheckILm5ElEESB_Lm5ESC_lEENS6_INS7_ISA_KSB_Lm4ESC_lEESG_SI_Lm5ESC_lEEiiiii
; %bb.0:
	s_clause 0x2
	s_load_b32 s2, s[0:1], 0xd4
	s_load_b128 s[4:7], s[0:1], 0x70
	s_load_b64 s[8:9], s[0:1], 0x80
	s_waitcnt lgkmcnt(0)
	s_and_b32 s2, s2, 0xffff
	s_delay_alu instid0(SALU_CYCLE_1)
	v_mad_u64_u32 v[1:2], null, s13, s2, v[0:1]
	s_mul_i32 s10, s8, s7
	s_mul_hi_u32 s11, s8, s6
	s_mul_i32 s2, s9, s6
	s_mul_i32 s3, s8, s6
	s_add_i32 s12, s11, s10
	s_mul_i32 s5, s3, s5
	s_mul_hi_u32 s10, s3, s4
	s_add_i32 s12, s12, s2
	v_ashrrev_i32_e32 v2, 31, v1
	s_add_i32 s2, s10, s5
	s_mul_i32 s5, s12, s4
	s_mul_i32 s4, s3, s4
	s_add_i32 s5, s2, s5
	s_mov_b32 s2, exec_lo
	v_cmpx_gt_i64_e64 s[4:5], v[1:2]
	s_cbranch_execz .LBB7_15
; %bb.1:
	v_or_b32_e32 v4, s9, v2
	v_mov_b32_e32 v3, 0
	s_delay_alu instid0(VALU_DEP_1) | instskip(SKIP_1) | instid1(SALU_CYCLE_1)
	v_cmp_ne_u64_e32 vcc_lo, 0, v[3:4]
                                        ; implicit-def: $vgpr3_vgpr4
	s_and_saveexec_b32 s2, vcc_lo
	s_xor_b32 s13, exec_lo, s2
	s_cbranch_execz .LBB7_3
; %bb.2:
	s_ashr_i32 s4, s9, 31
	s_delay_alu instid0(SALU_CYCLE_1) | instskip(SKIP_2) | instid1(SALU_CYCLE_1)
	s_add_u32 s10, s8, s4
	s_mov_b32 s5, s4
	s_addc_u32 s11, s9, s4
	s_xor_b64 s[10:11], s[10:11], s[4:5]
	s_delay_alu instid0(SALU_CYCLE_1) | instskip(SKIP_3) | instid1(VALU_DEP_1)
	v_cvt_f32_u32_e32 v0, s10
	v_cvt_f32_u32_e32 v3, s11
	s_sub_u32 s2, 0, s10
	s_subb_u32 s5, 0, s11
	v_fmamk_f32 v0, v3, 0x4f800000, v0
	s_delay_alu instid0(VALU_DEP_1) | instskip(SKIP_2) | instid1(VALU_DEP_1)
	v_rcp_f32_e32 v0, v0
	s_waitcnt_depctr 0xfff
	v_mul_f32_e32 v0, 0x5f7ffffc, v0
	v_mul_f32_e32 v3, 0x2f800000, v0
	s_delay_alu instid0(VALU_DEP_1) | instskip(NEXT) | instid1(VALU_DEP_1)
	v_trunc_f32_e32 v3, v3
	v_fmamk_f32 v0, v3, 0xcf800000, v0
	v_cvt_u32_f32_e32 v3, v3
	s_delay_alu instid0(VALU_DEP_2) | instskip(NEXT) | instid1(VALU_DEP_2)
	v_cvt_u32_f32_e32 v0, v0
	v_mul_lo_u32 v4, s2, v3
	s_delay_alu instid0(VALU_DEP_2) | instskip(SKIP_1) | instid1(VALU_DEP_2)
	v_mul_hi_u32 v5, s2, v0
	v_mul_lo_u32 v6, s5, v0
	v_add_nc_u32_e32 v4, v5, v4
	v_mul_lo_u32 v5, s2, v0
	s_delay_alu instid0(VALU_DEP_2) | instskip(NEXT) | instid1(VALU_DEP_2)
	v_add_nc_u32_e32 v4, v4, v6
	v_mul_hi_u32 v6, v0, v5
	s_delay_alu instid0(VALU_DEP_2)
	v_mul_lo_u32 v7, v0, v4
	v_mul_hi_u32 v8, v0, v4
	v_mul_hi_u32 v9, v3, v5
	v_mul_lo_u32 v5, v3, v5
	v_mul_hi_u32 v10, v3, v4
	v_mul_lo_u32 v4, v3, v4
	v_add_co_u32 v6, vcc_lo, v6, v7
	v_add_co_ci_u32_e32 v7, vcc_lo, 0, v8, vcc_lo
	s_delay_alu instid0(VALU_DEP_2) | instskip(NEXT) | instid1(VALU_DEP_2)
	v_add_co_u32 v5, vcc_lo, v6, v5
	v_add_co_ci_u32_e32 v5, vcc_lo, v7, v9, vcc_lo
	v_add_co_ci_u32_e32 v6, vcc_lo, 0, v10, vcc_lo
	v_ashrrev_i32_e32 v9, 31, v2
	s_delay_alu instid0(VALU_DEP_3) | instskip(NEXT) | instid1(VALU_DEP_3)
	v_add_co_u32 v4, vcc_lo, v5, v4
	v_add_co_ci_u32_e32 v5, vcc_lo, 0, v6, vcc_lo
	s_delay_alu instid0(VALU_DEP_2) | instskip(NEXT) | instid1(VALU_DEP_2)
	v_add_co_u32 v0, vcc_lo, v0, v4
	v_add_co_ci_u32_e32 v3, vcc_lo, v3, v5, vcc_lo
	s_delay_alu instid0(VALU_DEP_2) | instskip(SKIP_1) | instid1(VALU_DEP_3)
	v_mul_hi_u32 v4, s2, v0
	v_mul_lo_u32 v6, s5, v0
	v_mul_lo_u32 v5, s2, v3
	s_delay_alu instid0(VALU_DEP_1) | instskip(SKIP_1) | instid1(VALU_DEP_2)
	v_add_nc_u32_e32 v4, v4, v5
	v_mul_lo_u32 v5, s2, v0
	v_add_nc_u32_e32 v4, v4, v6
	s_delay_alu instid0(VALU_DEP_2) | instskip(NEXT) | instid1(VALU_DEP_2)
	v_mul_hi_u32 v6, v0, v5
	v_mul_lo_u32 v7, v0, v4
	v_mul_hi_u32 v8, v0, v4
	v_mul_hi_u32 v10, v3, v5
	v_mul_lo_u32 v5, v3, v5
	v_mul_hi_u32 v11, v3, v4
	v_mul_lo_u32 v4, v3, v4
	v_add_co_u32 v6, vcc_lo, v6, v7
	v_add_co_ci_u32_e32 v7, vcc_lo, 0, v8, vcc_lo
	s_delay_alu instid0(VALU_DEP_2) | instskip(NEXT) | instid1(VALU_DEP_2)
	v_add_co_u32 v5, vcc_lo, v6, v5
	v_add_co_ci_u32_e32 v5, vcc_lo, v7, v10, vcc_lo
	v_add_co_ci_u32_e32 v6, vcc_lo, 0, v11, vcc_lo
	v_add_co_u32 v7, vcc_lo, v1, v9
	v_add_co_ci_u32_e32 v8, vcc_lo, v2, v9, vcc_lo
	s_delay_alu instid0(VALU_DEP_4) | instskip(NEXT) | instid1(VALU_DEP_4)
	v_add_co_u32 v4, vcc_lo, v5, v4
	v_add_co_ci_u32_e32 v5, vcc_lo, 0, v6, vcc_lo
	s_delay_alu instid0(VALU_DEP_4) | instskip(NEXT) | instid1(VALU_DEP_3)
	v_xor_b32_e32 v10, v7, v9
	v_add_co_u32 v0, vcc_lo, v0, v4
	s_delay_alu instid0(VALU_DEP_3) | instskip(SKIP_1) | instid1(VALU_DEP_3)
	v_add_co_ci_u32_e32 v11, vcc_lo, v3, v5, vcc_lo
	v_xor_b32_e32 v12, v8, v9
	v_mul_hi_u32 v13, v10, v0
	s_delay_alu instid0(VALU_DEP_3) | instskip(NEXT) | instid1(VALU_DEP_3)
	v_mad_u64_u32 v[3:4], null, v10, v11, 0
	v_mad_u64_u32 v[5:6], null, v12, v0, 0
	;; [unrolled: 1-line block ×3, first 2 shown]
	s_delay_alu instid0(VALU_DEP_3) | instskip(NEXT) | instid1(VALU_DEP_4)
	v_add_co_u32 v0, vcc_lo, v13, v3
	v_add_co_ci_u32_e32 v3, vcc_lo, 0, v4, vcc_lo
	s_delay_alu instid0(VALU_DEP_2) | instskip(NEXT) | instid1(VALU_DEP_2)
	v_add_co_u32 v0, vcc_lo, v0, v5
	v_add_co_ci_u32_e32 v0, vcc_lo, v3, v6, vcc_lo
	v_add_co_ci_u32_e32 v3, vcc_lo, 0, v8, vcc_lo
	s_delay_alu instid0(VALU_DEP_2) | instskip(NEXT) | instid1(VALU_DEP_2)
	v_add_co_u32 v0, vcc_lo, v0, v7
	v_add_co_ci_u32_e32 v5, vcc_lo, 0, v3, vcc_lo
	s_delay_alu instid0(VALU_DEP_2) | instskip(SKIP_1) | instid1(VALU_DEP_3)
	v_mul_lo_u32 v6, s11, v0
	v_mad_u64_u32 v[3:4], null, s10, v0, 0
	v_mul_lo_u32 v7, s10, v5
	s_delay_alu instid0(VALU_DEP_2) | instskip(NEXT) | instid1(VALU_DEP_2)
	v_sub_co_u32 v3, vcc_lo, v10, v3
	v_add3_u32 v4, v4, v7, v6
	s_delay_alu instid0(VALU_DEP_1) | instskip(NEXT) | instid1(VALU_DEP_1)
	v_sub_nc_u32_e32 v6, v12, v4
	v_subrev_co_ci_u32_e64 v6, s2, s11, v6, vcc_lo
	v_add_co_u32 v7, s2, v0, 2
	s_delay_alu instid0(VALU_DEP_1) | instskip(SKIP_3) | instid1(VALU_DEP_3)
	v_add_co_ci_u32_e64 v8, s2, 0, v5, s2
	v_sub_co_u32 v10, s2, v3, s10
	v_sub_co_ci_u32_e32 v4, vcc_lo, v12, v4, vcc_lo
	v_subrev_co_ci_u32_e64 v6, s2, 0, v6, s2
	v_cmp_le_u32_e32 vcc_lo, s10, v10
	s_delay_alu instid0(VALU_DEP_3) | instskip(SKIP_1) | instid1(VALU_DEP_4)
	v_cmp_eq_u32_e64 s2, s11, v4
	v_cndmask_b32_e64 v10, 0, -1, vcc_lo
	v_cmp_le_u32_e32 vcc_lo, s11, v6
	v_cndmask_b32_e64 v11, 0, -1, vcc_lo
	v_cmp_le_u32_e32 vcc_lo, s10, v3
	;; [unrolled: 2-line block ×3, first 2 shown]
	v_cndmask_b32_e64 v12, 0, -1, vcc_lo
	v_cmp_eq_u32_e32 vcc_lo, s11, v6
	s_delay_alu instid0(VALU_DEP_2) | instskip(SKIP_3) | instid1(VALU_DEP_3)
	v_cndmask_b32_e64 v3, v12, v3, s2
	v_cndmask_b32_e32 v6, v11, v10, vcc_lo
	v_add_co_u32 v10, vcc_lo, v0, 1
	v_add_co_ci_u32_e32 v11, vcc_lo, 0, v5, vcc_lo
	v_cmp_ne_u32_e32 vcc_lo, 0, v6
	s_delay_alu instid0(VALU_DEP_2) | instskip(NEXT) | instid1(VALU_DEP_4)
	v_cndmask_b32_e32 v4, v11, v8, vcc_lo
	v_cndmask_b32_e32 v6, v10, v7, vcc_lo
	v_cmp_ne_u32_e32 vcc_lo, 0, v3
	v_xor_b32_e32 v7, s4, v9
	s_delay_alu instid0(VALU_DEP_3) | instskip(NEXT) | instid1(VALU_DEP_1)
	v_dual_cndmask_b32 v0, v0, v6 :: v_dual_cndmask_b32 v3, v5, v4
	v_xor_b32_e32 v0, v0, v7
	s_delay_alu instid0(VALU_DEP_2) | instskip(NEXT) | instid1(VALU_DEP_2)
	v_xor_b32_e32 v4, v3, v7
	v_sub_co_u32 v3, vcc_lo, v0, v7
	s_delay_alu instid0(VALU_DEP_2)
	v_sub_co_ci_u32_e32 v4, vcc_lo, v4, v7, vcc_lo
.LBB7_3:
	s_and_not1_saveexec_b32 s2, s13
	s_cbranch_execz .LBB7_5
; %bb.4:
	v_cvt_f32_u32_e32 v0, s8
	s_sub_i32 s4, 0, s8
	s_delay_alu instid0(VALU_DEP_1) | instskip(SKIP_2) | instid1(VALU_DEP_1)
	v_rcp_iflag_f32_e32 v0, v0
	s_waitcnt_depctr 0xfff
	v_mul_f32_e32 v0, 0x4f7ffffe, v0
	v_cvt_u32_f32_e32 v0, v0
	s_delay_alu instid0(VALU_DEP_1) | instskip(NEXT) | instid1(VALU_DEP_1)
	v_mul_lo_u32 v3, s4, v0
	v_mul_hi_u32 v3, v0, v3
	s_delay_alu instid0(VALU_DEP_1) | instskip(NEXT) | instid1(VALU_DEP_1)
	v_add_nc_u32_e32 v0, v0, v3
	v_mul_hi_u32 v0, v1, v0
	s_delay_alu instid0(VALU_DEP_1) | instskip(SKIP_1) | instid1(VALU_DEP_2)
	v_mul_lo_u32 v3, v0, s8
	v_add_nc_u32_e32 v4, 1, v0
	v_sub_nc_u32_e32 v3, v1, v3
	s_delay_alu instid0(VALU_DEP_1) | instskip(SKIP_1) | instid1(VALU_DEP_2)
	v_subrev_nc_u32_e32 v5, s8, v3
	v_cmp_le_u32_e32 vcc_lo, s8, v3
	v_dual_cndmask_b32 v3, v3, v5 :: v_dual_cndmask_b32 v0, v0, v4
	s_delay_alu instid0(VALU_DEP_1) | instskip(NEXT) | instid1(VALU_DEP_2)
	v_cmp_le_u32_e32 vcc_lo, s8, v3
	v_add_nc_u32_e32 v4, 1, v0
	s_delay_alu instid0(VALU_DEP_1)
	v_dual_cndmask_b32 v3, v0, v4 :: v_dual_mov_b32 v4, 0
.LBB7_5:
	s_or_b32 exec_lo, exec_lo, s2
	s_delay_alu instid0(VALU_DEP_1) | instskip(SKIP_1) | instid1(VALU_DEP_1)
	v_or_b32_e32 v6, s7, v4
	v_mov_b32_e32 v5, 0
	v_cmp_ne_u64_e32 vcc_lo, 0, v[5:6]
                                        ; implicit-def: $vgpr5_vgpr6
	s_and_saveexec_b32 s2, vcc_lo
	s_delay_alu instid0(SALU_CYCLE_1)
	s_xor_b32 s10, exec_lo, s2
	s_cbranch_execz .LBB7_7
; %bb.6:
	s_ashr_i32 s4, s7, 31
	s_delay_alu instid0(SALU_CYCLE_1) | instskip(SKIP_2) | instid1(SALU_CYCLE_1)
	s_add_u32 s16, s6, s4
	s_mov_b32 s5, s4
	s_addc_u32 s17, s7, s4
	s_xor_b64 s[4:5], s[16:17], s[4:5]
	s_delay_alu instid0(SALU_CYCLE_1) | instskip(SKIP_3) | instid1(VALU_DEP_1)
	v_cvt_f32_u32_e32 v0, s4
	v_cvt_f32_u32_e32 v5, s5
	s_sub_u32 s2, 0, s4
	s_subb_u32 s7, 0, s5
	v_fmamk_f32 v0, v5, 0x4f800000, v0
	s_delay_alu instid0(VALU_DEP_1) | instskip(SKIP_2) | instid1(VALU_DEP_1)
	v_rcp_f32_e32 v0, v0
	s_waitcnt_depctr 0xfff
	v_mul_f32_e32 v0, 0x5f7ffffc, v0
	v_mul_f32_e32 v5, 0x2f800000, v0
	s_delay_alu instid0(VALU_DEP_1) | instskip(NEXT) | instid1(VALU_DEP_1)
	v_trunc_f32_e32 v5, v5
	v_fmamk_f32 v0, v5, 0xcf800000, v0
	v_cvt_u32_f32_e32 v5, v5
	s_delay_alu instid0(VALU_DEP_2) | instskip(NEXT) | instid1(VALU_DEP_2)
	v_cvt_u32_f32_e32 v0, v0
	v_mul_lo_u32 v6, s2, v5
	s_delay_alu instid0(VALU_DEP_2) | instskip(SKIP_1) | instid1(VALU_DEP_2)
	v_mul_hi_u32 v7, s2, v0
	v_mul_lo_u32 v8, s7, v0
	v_add_nc_u32_e32 v6, v7, v6
	v_mul_lo_u32 v7, s2, v0
	s_delay_alu instid0(VALU_DEP_2) | instskip(NEXT) | instid1(VALU_DEP_2)
	v_add_nc_u32_e32 v6, v6, v8
	v_mul_hi_u32 v8, v0, v7
	s_delay_alu instid0(VALU_DEP_2)
	v_mul_lo_u32 v9, v0, v6
	v_mul_hi_u32 v10, v0, v6
	v_mul_hi_u32 v11, v5, v7
	v_mul_lo_u32 v7, v5, v7
	v_mul_hi_u32 v12, v5, v6
	v_mul_lo_u32 v6, v5, v6
	v_add_co_u32 v8, vcc_lo, v8, v9
	v_add_co_ci_u32_e32 v9, vcc_lo, 0, v10, vcc_lo
	s_delay_alu instid0(VALU_DEP_2) | instskip(NEXT) | instid1(VALU_DEP_2)
	v_add_co_u32 v7, vcc_lo, v8, v7
	v_add_co_ci_u32_e32 v7, vcc_lo, v9, v11, vcc_lo
	v_add_co_ci_u32_e32 v8, vcc_lo, 0, v12, vcc_lo
	v_ashrrev_i32_e32 v11, 31, v4
	s_delay_alu instid0(VALU_DEP_3) | instskip(NEXT) | instid1(VALU_DEP_3)
	v_add_co_u32 v6, vcc_lo, v7, v6
	v_add_co_ci_u32_e32 v7, vcc_lo, 0, v8, vcc_lo
	s_delay_alu instid0(VALU_DEP_2) | instskip(NEXT) | instid1(VALU_DEP_2)
	v_add_co_u32 v0, vcc_lo, v0, v6
	v_add_co_ci_u32_e32 v5, vcc_lo, v5, v7, vcc_lo
	s_delay_alu instid0(VALU_DEP_2) | instskip(SKIP_1) | instid1(VALU_DEP_3)
	v_mul_hi_u32 v6, s2, v0
	v_mul_lo_u32 v8, s7, v0
	v_mul_lo_u32 v7, s2, v5
	s_delay_alu instid0(VALU_DEP_1) | instskip(SKIP_1) | instid1(VALU_DEP_2)
	v_add_nc_u32_e32 v6, v6, v7
	v_mul_lo_u32 v7, s2, v0
	v_add_nc_u32_e32 v6, v6, v8
	s_delay_alu instid0(VALU_DEP_2) | instskip(NEXT) | instid1(VALU_DEP_2)
	v_mul_hi_u32 v8, v0, v7
	v_mul_lo_u32 v9, v0, v6
	v_mul_hi_u32 v10, v0, v6
	v_mul_hi_u32 v12, v5, v7
	v_mul_lo_u32 v7, v5, v7
	v_mul_hi_u32 v13, v5, v6
	v_mul_lo_u32 v6, v5, v6
	v_add_co_u32 v8, vcc_lo, v8, v9
	v_add_co_ci_u32_e32 v9, vcc_lo, 0, v10, vcc_lo
	s_delay_alu instid0(VALU_DEP_2) | instskip(NEXT) | instid1(VALU_DEP_2)
	v_add_co_u32 v7, vcc_lo, v8, v7
	v_add_co_ci_u32_e32 v7, vcc_lo, v9, v12, vcc_lo
	v_add_co_ci_u32_e32 v8, vcc_lo, 0, v13, vcc_lo
	v_add_co_u32 v9, vcc_lo, v3, v11
	v_add_co_ci_u32_e32 v10, vcc_lo, v4, v11, vcc_lo
	s_delay_alu instid0(VALU_DEP_4) | instskip(NEXT) | instid1(VALU_DEP_4)
	v_add_co_u32 v6, vcc_lo, v7, v6
	v_add_co_ci_u32_e32 v7, vcc_lo, 0, v8, vcc_lo
	s_delay_alu instid0(VALU_DEP_4) | instskip(NEXT) | instid1(VALU_DEP_3)
	v_xor_b32_e32 v12, v9, v11
	v_add_co_u32 v0, vcc_lo, v0, v6
	s_delay_alu instid0(VALU_DEP_3) | instskip(SKIP_1) | instid1(VALU_DEP_3)
	v_add_co_ci_u32_e32 v13, vcc_lo, v5, v7, vcc_lo
	v_xor_b32_e32 v14, v10, v11
	v_mul_hi_u32 v15, v12, v0
	s_delay_alu instid0(VALU_DEP_3) | instskip(NEXT) | instid1(VALU_DEP_3)
	v_mad_u64_u32 v[5:6], null, v12, v13, 0
	v_mad_u64_u32 v[7:8], null, v14, v0, 0
	v_mad_u64_u32 v[9:10], null, v14, v13, 0
	s_delay_alu instid0(VALU_DEP_3) | instskip(NEXT) | instid1(VALU_DEP_4)
	v_add_co_u32 v0, vcc_lo, v15, v5
	v_add_co_ci_u32_e32 v5, vcc_lo, 0, v6, vcc_lo
	s_delay_alu instid0(VALU_DEP_2) | instskip(NEXT) | instid1(VALU_DEP_2)
	v_add_co_u32 v0, vcc_lo, v0, v7
	v_add_co_ci_u32_e32 v0, vcc_lo, v5, v8, vcc_lo
	v_add_co_ci_u32_e32 v5, vcc_lo, 0, v10, vcc_lo
	s_delay_alu instid0(VALU_DEP_2) | instskip(NEXT) | instid1(VALU_DEP_2)
	v_add_co_u32 v0, vcc_lo, v0, v9
	v_add_co_ci_u32_e32 v7, vcc_lo, 0, v5, vcc_lo
	s_delay_alu instid0(VALU_DEP_2) | instskip(SKIP_1) | instid1(VALU_DEP_3)
	v_mul_lo_u32 v8, s5, v0
	v_mad_u64_u32 v[5:6], null, s4, v0, 0
	v_mul_lo_u32 v0, s4, v7
	s_delay_alu instid0(VALU_DEP_2) | instskip(NEXT) | instid1(VALU_DEP_2)
	v_sub_co_u32 v5, vcc_lo, v12, v5
	v_add3_u32 v0, v6, v0, v8
	s_delay_alu instid0(VALU_DEP_1) | instskip(NEXT) | instid1(VALU_DEP_1)
	v_sub_nc_u32_e32 v6, v14, v0
	v_subrev_co_ci_u32_e64 v6, s2, s5, v6, vcc_lo
	s_delay_alu instid0(VALU_DEP_4) | instskip(SKIP_1) | instid1(VALU_DEP_3)
	v_sub_co_u32 v7, s2, v5, s4
	v_sub_co_ci_u32_e32 v0, vcc_lo, v14, v0, vcc_lo
	v_subrev_co_ci_u32_e64 v6, s2, 0, v6, s2
	s_delay_alu instid0(VALU_DEP_3) | instskip(SKIP_1) | instid1(VALU_DEP_3)
	v_cmp_le_u32_e32 vcc_lo, s4, v7
	v_cndmask_b32_e64 v8, 0, -1, vcc_lo
	v_cmp_le_u32_e32 vcc_lo, s5, v6
	v_cndmask_b32_e64 v9, 0, -1, vcc_lo
	;; [unrolled: 2-line block ×4, first 2 shown]
	v_cmp_eq_u32_e32 vcc_lo, s5, v6
	v_cndmask_b32_e32 v6, v9, v8, vcc_lo
	v_sub_co_u32 v8, vcc_lo, v7, s4
	v_cmp_eq_u32_e32 vcc_lo, s5, v0
	v_cndmask_b32_e32 v0, v12, v10, vcc_lo
	s_delay_alu instid0(VALU_DEP_4) | instskip(NEXT) | instid1(VALU_DEP_4)
	v_cmp_ne_u32_e32 vcc_lo, 0, v6
	v_cndmask_b32_e32 v6, v7, v8, vcc_lo
	s_delay_alu instid0(VALU_DEP_3) | instskip(NEXT) | instid1(VALU_DEP_2)
	v_cmp_ne_u32_e32 vcc_lo, 0, v0
	v_cndmask_b32_e32 v0, v5, v6, vcc_lo
	s_delay_alu instid0(VALU_DEP_1) | instskip(NEXT) | instid1(VALU_DEP_1)
	v_xor_b32_e32 v0, v0, v11
	v_sub_co_u32 v5, vcc_lo, v0, v11
.LBB7_7:
	s_and_not1_saveexec_b32 s2, s10
	s_cbranch_execz .LBB7_9
; %bb.8:
	v_cvt_f32_u32_e32 v0, s6
	s_sub_i32 s4, 0, s6
	s_delay_alu instid0(VALU_DEP_1) | instskip(SKIP_2) | instid1(VALU_DEP_1)
	v_rcp_iflag_f32_e32 v0, v0
	s_waitcnt_depctr 0xfff
	v_mul_f32_e32 v0, 0x4f7ffffe, v0
	v_cvt_u32_f32_e32 v0, v0
	s_delay_alu instid0(VALU_DEP_1) | instskip(NEXT) | instid1(VALU_DEP_1)
	v_mul_lo_u32 v5, s4, v0
	v_mul_hi_u32 v5, v0, v5
	s_delay_alu instid0(VALU_DEP_1) | instskip(NEXT) | instid1(VALU_DEP_1)
	v_add_nc_u32_e32 v0, v0, v5
	v_mul_hi_u32 v0, v3, v0
	s_delay_alu instid0(VALU_DEP_1) | instskip(NEXT) | instid1(VALU_DEP_1)
	v_mul_lo_u32 v0, v0, s6
	v_sub_nc_u32_e32 v0, v3, v0
	s_delay_alu instid0(VALU_DEP_1) | instskip(SKIP_1) | instid1(VALU_DEP_2)
	v_subrev_nc_u32_e32 v5, s6, v0
	v_cmp_le_u32_e32 vcc_lo, s6, v0
	v_cndmask_b32_e32 v0, v0, v5, vcc_lo
	s_delay_alu instid0(VALU_DEP_1) | instskip(SKIP_1) | instid1(VALU_DEP_2)
	v_subrev_nc_u32_e32 v5, s6, v0
	v_cmp_le_u32_e32 vcc_lo, s6, v0
	v_cndmask_b32_e32 v5, v0, v5, vcc_lo
.LBB7_9:
	s_or_b32 exec_lo, exec_lo, s2
	v_or_b32_e32 v7, s12, v2
	v_mov_b32_e32 v6, 0
	s_delay_alu instid0(VALU_DEP_1) | instskip(SKIP_1) | instid1(SALU_CYCLE_1)
	v_cmp_ne_u64_e32 vcc_lo, 0, v[6:7]
                                        ; implicit-def: $vgpr6_vgpr7
	s_and_saveexec_b32 s2, vcc_lo
	s_xor_b32 s10, exec_lo, s2
	s_cbranch_execz .LBB7_11
; %bb.10:
	s_ashr_i32 s4, s12, 31
	s_delay_alu instid0(SALU_CYCLE_1) | instskip(SKIP_2) | instid1(SALU_CYCLE_1)
	s_add_u32 s6, s3, s4
	s_mov_b32 s5, s4
	s_addc_u32 s7, s12, s4
	s_xor_b64 s[6:7], s[6:7], s[4:5]
	s_delay_alu instid0(SALU_CYCLE_1) | instskip(SKIP_3) | instid1(VALU_DEP_1)
	v_cvt_f32_u32_e32 v0, s6
	v_cvt_f32_u32_e32 v6, s7
	s_sub_u32 s2, 0, s6
	s_subb_u32 s5, 0, s7
	v_fmamk_f32 v0, v6, 0x4f800000, v0
	s_delay_alu instid0(VALU_DEP_1) | instskip(SKIP_2) | instid1(VALU_DEP_1)
	v_rcp_f32_e32 v0, v0
	s_waitcnt_depctr 0xfff
	v_mul_f32_e32 v0, 0x5f7ffffc, v0
	v_mul_f32_e32 v6, 0x2f800000, v0
	s_delay_alu instid0(VALU_DEP_1) | instskip(NEXT) | instid1(VALU_DEP_1)
	v_trunc_f32_e32 v6, v6
	v_fmamk_f32 v0, v6, 0xcf800000, v0
	v_cvt_u32_f32_e32 v6, v6
	s_delay_alu instid0(VALU_DEP_2) | instskip(NEXT) | instid1(VALU_DEP_2)
	v_cvt_u32_f32_e32 v0, v0
	v_mul_lo_u32 v7, s2, v6
	s_delay_alu instid0(VALU_DEP_2) | instskip(SKIP_1) | instid1(VALU_DEP_2)
	v_mul_hi_u32 v8, s2, v0
	v_mul_lo_u32 v9, s5, v0
	v_add_nc_u32_e32 v7, v8, v7
	v_mul_lo_u32 v8, s2, v0
	s_delay_alu instid0(VALU_DEP_2) | instskip(NEXT) | instid1(VALU_DEP_2)
	v_add_nc_u32_e32 v7, v7, v9
	v_mul_hi_u32 v9, v0, v8
	s_delay_alu instid0(VALU_DEP_2)
	v_mul_lo_u32 v10, v0, v7
	v_mul_hi_u32 v11, v0, v7
	v_mul_hi_u32 v12, v6, v8
	v_mul_lo_u32 v8, v6, v8
	v_mul_hi_u32 v13, v6, v7
	v_mul_lo_u32 v7, v6, v7
	v_add_co_u32 v9, vcc_lo, v9, v10
	v_add_co_ci_u32_e32 v10, vcc_lo, 0, v11, vcc_lo
	s_delay_alu instid0(VALU_DEP_2) | instskip(NEXT) | instid1(VALU_DEP_2)
	v_add_co_u32 v8, vcc_lo, v9, v8
	v_add_co_ci_u32_e32 v8, vcc_lo, v10, v12, vcc_lo
	v_add_co_ci_u32_e32 v9, vcc_lo, 0, v13, vcc_lo
	v_mov_b32_e32 v12, v2
	s_delay_alu instid0(VALU_DEP_3) | instskip(NEXT) | instid1(VALU_DEP_3)
	v_add_co_u32 v7, vcc_lo, v8, v7
	v_add_co_ci_u32_e32 v8, vcc_lo, 0, v9, vcc_lo
	v_mov_b32_e32 v13, v2
	s_delay_alu instid0(VALU_DEP_3) | instskip(NEXT) | instid1(VALU_DEP_3)
	v_add_co_u32 v0, vcc_lo, v0, v7
	v_add_co_ci_u32_e32 v6, vcc_lo, v6, v8, vcc_lo
	s_delay_alu instid0(VALU_DEP_2) | instskip(SKIP_1) | instid1(VALU_DEP_3)
	v_mul_hi_u32 v7, s2, v0
	v_mul_lo_u32 v9, s5, v0
	v_mul_lo_u32 v8, s2, v6
	s_delay_alu instid0(VALU_DEP_1) | instskip(SKIP_1) | instid1(VALU_DEP_2)
	v_add_nc_u32_e32 v7, v7, v8
	v_mul_lo_u32 v8, s2, v0
	v_add_nc_u32_e32 v7, v7, v9
	s_delay_alu instid0(VALU_DEP_2) | instskip(NEXT) | instid1(VALU_DEP_2)
	v_mul_hi_u32 v9, v0, v8
	v_mul_lo_u32 v10, v0, v7
	v_mul_hi_u32 v11, v0, v7
	v_mul_hi_u32 v14, v6, v8
	v_mul_lo_u32 v8, v6, v8
	v_mul_hi_u32 v15, v6, v7
	v_mul_lo_u32 v7, v6, v7
	v_add_co_u32 v9, vcc_lo, v9, v10
	v_add_co_ci_u32_e32 v10, vcc_lo, 0, v11, vcc_lo
	s_delay_alu instid0(VALU_DEP_2) | instskip(NEXT) | instid1(VALU_DEP_2)
	v_add_co_u32 v8, vcc_lo, v9, v8
	v_add_co_ci_u32_e32 v8, vcc_lo, v10, v14, vcc_lo
	v_add_co_ci_u32_e32 v9, vcc_lo, 0, v15, vcc_lo
	v_add_co_u32 v10, vcc_lo, v1, v12
	v_add_co_ci_u32_e32 v11, vcc_lo, v2, v13, vcc_lo
	s_delay_alu instid0(VALU_DEP_4) | instskip(NEXT) | instid1(VALU_DEP_4)
	v_add_co_u32 v7, vcc_lo, v8, v7
	v_add_co_ci_u32_e32 v8, vcc_lo, 0, v9, vcc_lo
	s_delay_alu instid0(VALU_DEP_4) | instskip(NEXT) | instid1(VALU_DEP_3)
	v_xor_b32_e32 v14, v10, v12
	v_add_co_u32 v0, vcc_lo, v0, v7
	s_delay_alu instid0(VALU_DEP_3) | instskip(SKIP_1) | instid1(VALU_DEP_3)
	v_add_co_ci_u32_e32 v15, vcc_lo, v6, v8, vcc_lo
	v_xor_b32_e32 v13, v11, v13
	v_mul_hi_u32 v16, v14, v0
	s_delay_alu instid0(VALU_DEP_3) | instskip(NEXT) | instid1(VALU_DEP_3)
	v_mad_u64_u32 v[6:7], null, v14, v15, 0
	v_mad_u64_u32 v[8:9], null, v13, v0, 0
	v_mad_u64_u32 v[10:11], null, v13, v15, 0
	s_delay_alu instid0(VALU_DEP_3) | instskip(NEXT) | instid1(VALU_DEP_4)
	v_add_co_u32 v0, vcc_lo, v16, v6
	v_add_co_ci_u32_e32 v6, vcc_lo, 0, v7, vcc_lo
	s_delay_alu instid0(VALU_DEP_2) | instskip(NEXT) | instid1(VALU_DEP_2)
	v_add_co_u32 v0, vcc_lo, v0, v8
	v_add_co_ci_u32_e32 v0, vcc_lo, v6, v9, vcc_lo
	v_add_co_ci_u32_e32 v6, vcc_lo, 0, v11, vcc_lo
	s_delay_alu instid0(VALU_DEP_2) | instskip(NEXT) | instid1(VALU_DEP_2)
	v_add_co_u32 v0, vcc_lo, v0, v10
	v_add_co_ci_u32_e32 v8, vcc_lo, 0, v6, vcc_lo
	s_delay_alu instid0(VALU_DEP_2) | instskip(SKIP_1) | instid1(VALU_DEP_3)
	v_mul_lo_u32 v9, s7, v0
	v_mad_u64_u32 v[6:7], null, s6, v0, 0
	v_mul_lo_u32 v8, s6, v8
	s_delay_alu instid0(VALU_DEP_2) | instskip(NEXT) | instid1(VALU_DEP_2)
	v_sub_co_u32 v6, vcc_lo, v14, v6
	v_add3_u32 v7, v7, v8, v9
	v_add_co_u32 v9, s2, v0, 2
	s_delay_alu instid0(VALU_DEP_2) | instskip(NEXT) | instid1(VALU_DEP_1)
	v_sub_nc_u32_e32 v8, v13, v7
	v_subrev_co_ci_u32_e64 v8, s2, s7, v8, vcc_lo
	v_sub_co_u32 v10, s2, v6, s6
	v_sub_co_ci_u32_e32 v7, vcc_lo, v13, v7, vcc_lo
	s_delay_alu instid0(VALU_DEP_3) | instskip(NEXT) | instid1(VALU_DEP_3)
	v_subrev_co_ci_u32_e64 v8, s2, 0, v8, s2
	v_cmp_le_u32_e32 vcc_lo, s6, v10
	v_cndmask_b32_e64 v10, 0, -1, vcc_lo
	s_delay_alu instid0(VALU_DEP_3)
	v_cmp_le_u32_e32 vcc_lo, s7, v8
	v_cndmask_b32_e64 v11, 0, -1, vcc_lo
	v_cmp_le_u32_e32 vcc_lo, s6, v6
	v_cndmask_b32_e64 v6, 0, -1, vcc_lo
	;; [unrolled: 2-line block ×3, first 2 shown]
	v_cmp_eq_u32_e32 vcc_lo, s7, v8
	v_cndmask_b32_e32 v8, v11, v10, vcc_lo
	v_add_co_u32 v10, vcc_lo, v0, 1
	v_cmp_eq_u32_e32 vcc_lo, s7, v7
	v_cndmask_b32_e32 v6, v13, v6, vcc_lo
	s_delay_alu instid0(VALU_DEP_4) | instskip(NEXT) | instid1(VALU_DEP_4)
	v_cmp_ne_u32_e32 vcc_lo, 0, v8
	v_cndmask_b32_e32 v7, v10, v9, vcc_lo
	s_delay_alu instid0(VALU_DEP_3) | instskip(SKIP_1) | instid1(VALU_DEP_3)
	v_cmp_ne_u32_e32 vcc_lo, 0, v6
	v_xor_b32_e32 v6, s4, v12
	v_cndmask_b32_e32 v0, v0, v7, vcc_lo
	s_delay_alu instid0(VALU_DEP_1) | instskip(NEXT) | instid1(VALU_DEP_1)
	v_xor_b32_e32 v0, v0, v6
	v_sub_co_u32 v6, vcc_lo, v0, v6
.LBB7_11:
	s_and_not1_saveexec_b32 s2, s10
	s_cbranch_execz .LBB7_13
; %bb.12:
	v_cvt_f32_u32_e32 v0, s3
	s_sub_i32 s4, 0, s3
	s_delay_alu instid0(VALU_DEP_1) | instskip(SKIP_2) | instid1(VALU_DEP_1)
	v_rcp_iflag_f32_e32 v0, v0
	s_waitcnt_depctr 0xfff
	v_mul_f32_e32 v0, 0x4f7ffffe, v0
	v_cvt_u32_f32_e32 v0, v0
	s_delay_alu instid0(VALU_DEP_1) | instskip(NEXT) | instid1(VALU_DEP_1)
	v_mul_lo_u32 v6, s4, v0
	v_mul_hi_u32 v6, v0, v6
	s_delay_alu instid0(VALU_DEP_1) | instskip(NEXT) | instid1(VALU_DEP_1)
	v_add_nc_u32_e32 v0, v0, v6
	v_mul_hi_u32 v0, v1, v0
	s_delay_alu instid0(VALU_DEP_1) | instskip(SKIP_1) | instid1(VALU_DEP_2)
	v_mul_lo_u32 v6, v0, s3
	v_add_nc_u32_e32 v7, 1, v0
	v_sub_nc_u32_e32 v6, v1, v6
	s_delay_alu instid0(VALU_DEP_1) | instskip(SKIP_1) | instid1(VALU_DEP_2)
	v_subrev_nc_u32_e32 v8, s3, v6
	v_cmp_le_u32_e32 vcc_lo, s3, v6
	v_cndmask_b32_e32 v6, v6, v8, vcc_lo
	v_cndmask_b32_e32 v0, v0, v7, vcc_lo
	s_delay_alu instid0(VALU_DEP_2) | instskip(NEXT) | instid1(VALU_DEP_2)
	v_cmp_le_u32_e32 vcc_lo, s3, v6
	v_add_nc_u32_e32 v7, 1, v0
	s_delay_alu instid0(VALU_DEP_1)
	v_cndmask_b32_e32 v6, v0, v7, vcc_lo
.LBB7_13:
	s_or_b32 exec_lo, exec_lo, s2
	s_clause 0x3
	s_load_b32 s12, s[0:1], 0xc0
	s_load_b128 s[36:39], s[0:1], 0xb0
	s_load_b512 s[16:31], s[0:1], 0x18
	s_load_b64 s[2:3], s[0:1], 0xa8
	v_mul_lo_u32 v0, v4, s8
	v_mul_lo_u32 v4, v3, s9
	v_mad_u64_u32 v[7:8], null, v3, s8, 0
	s_load_b256 s[4:11], s[0:1], 0x88
	v_ashrrev_i32_e32 v10, 31, v5
	s_delay_alu instid0(VALU_DEP_2) | instskip(NEXT) | instid1(VALU_DEP_3)
	v_add3_u32 v0, v8, v4, v0
	v_sub_co_u32 v4, vcc_lo, v1, v7
	v_ashrrev_i32_e32 v1, 31, v6
	s_delay_alu instid0(VALU_DEP_3)
	v_sub_co_ci_u32_e32 v7, vcc_lo, v2, v0, vcc_lo
	s_waitcnt lgkmcnt(0)
	s_add_i32 s15, s15, s12
	s_sub_i32 s12, 0, s38
	s_sub_i32 s13, 0, s37
	s_max_i32 s21, s12, 0
	s_max_i32 s33, s13, 0
	s_load_b64 s[12:13], s[0:1], 0x58
	s_add_i32 s20, s38, s20
	s_max_i32 s19, s38, 0
	s_add_i32 s20, s20, -1
	s_sub_i32 s19, s21, s19
	v_maxmin_i32 v0, s38, v4, s20
	s_ashr_i32 s20, s15, 31
	s_mul_hi_u32 s38, s4, s15
	s_mul_i32 s21, s4, s20
	s_mul_i32 s5, s5, s15
	s_add_i32 s21, s38, s21
	v_add_nc_u32_e32 v8, s19, v0
	v_mul_lo_u32 v2, s9, v6
	v_mul_lo_u32 v3, s8, v1
	v_mad_u64_u32 v[0:1], null, s8, v6, 0
	s_sub_i32 s17, 0, s36
	s_add_i32 s5, s21, s5
	s_mul_i32 s4, s4, s15
	s_max_i32 s17, s17, 0
	s_max_i32 s34, s37, 0
	;; [unrolled: 1-line block ×3, first 2 shown]
	s_add_i32 s18, s37, s18
	s_add_i32 s16, s36, s16
	s_lshl_b64 s[4:5], s[4:5], 2
	s_add_i32 s14, s14, s39
	s_add_i32 s18, s18, -1
	s_sub_i32 s33, s33, s34
	s_add_i32 s16, s16, -1
	s_sub_i32 s17, s17, s35
	s_waitcnt lgkmcnt(0)
	s_add_u32 s12, s12, s4
	s_addc_u32 s13, s13, s5
	s_ashr_i32 s21, s14, 31
	v_add3_u32 v1, v1, v3, v2
	v_mul_lo_u32 v11, s11, v5
	v_mul_lo_u32 v10, s10, v10
	v_mad_u64_u32 v[2:3], null, s10, v5, 0
	s_mul_i32 s4, s6, s21
	s_mul_hi_u32 s5, s6, s14
	v_lshlrev_b64 v[0:1], 2, v[0:1]
	s_add_i32 s4, s5, s4
	s_mul_i32 s5, s7, s14
	v_maxmin_i32 v6, s36, v6, s16
	s_add_i32 s5, s4, s5
	s_mul_i32 s4, s6, s14
	v_add3_u32 v3, v3, v10, v11
	s_lshl_b64 s[4:5], s[4:5], 2
	v_maxmin_i32 v9, s37, v5, s18
	s_add_u32 s4, s12, s4
	v_add_nc_u32_e32 v5, s17, v6
	s_addc_u32 s5, s13, s5
	v_add_co_u32 v6, vcc_lo, s4, v0
	s_load_b64 s[0:1], s[0:1], 0x0
	v_add_co_ci_u32_e32 v10, vcc_lo, s5, v1, vcc_lo
	v_lshlrev_b64 v[0:1], 2, v[2:3]
	v_mul_lo_u32 v11, s3, v4
	v_mul_lo_u32 v7, s2, v7
	v_mad_u64_u32 v[2:3], null, s2, v4, 0
	v_add_nc_u32_e32 v9, s33, v9
	v_add_co_u32 v12, vcc_lo, v6, v0
	v_ashrrev_i32_e32 v0, 31, v5
	s_mul_i32 s3, s22, s20
	s_mul_hi_u32 s4, s22, s15
	v_add_co_ci_u32_e32 v10, vcc_lo, v10, v1, vcc_lo
	v_add3_u32 v3, v3, v7, v11
	v_mul_lo_u32 v6, s26, v0
	v_mul_lo_u32 v7, s27, v5
	v_ashrrev_i32_e32 v4, 31, v9
	v_mad_u64_u32 v[0:1], null, s26, v5, 0
	s_add_i32 s2, s4, s3
	s_mul_i32 s3, s23, s15
	s_delay_alu instid0(VALU_DEP_2)
	v_mul_lo_u32 v11, s28, v4
	s_add_i32 s3, s2, s3
	s_mul_i32 s2, s22, s15
	v_mul_lo_u32 v13, s29, v9
	v_mad_u64_u32 v[4:5], null, s28, v9, 0
	s_lshl_b64 s[2:3], s[2:3], 2
	v_add3_u32 v1, v1, v6, v7
	s_waitcnt lgkmcnt(0)
	s_add_u32 s2, s0, s2
	v_ashrrev_i32_e32 v6, 31, v8
	s_addc_u32 s3, s1, s3
	s_mul_i32 s0, s24, s21
	s_mul_hi_u32 s1, s24, s14
	v_lshlrev_b64 v[0:1], 2, v[0:1]
	s_add_i32 s0, s1, s0
	s_mul_i32 s1, s25, s14
	v_add3_u32 v5, v5, v11, v13
	s_add_i32 s1, s0, s1
	s_mul_i32 s0, s24, s14
	v_mul_lo_u32 v9, s30, v6
	v_mul_lo_u32 v11, s31, v8
	v_mad_u64_u32 v[6:7], null, s30, v8, 0
	s_lshl_b64 s[0:1], s[0:1], 2
	v_lshlrev_b64 v[4:5], 2, v[4:5]
	s_add_u32 s0, s2, s0
	s_addc_u32 s1, s3, s1
	v_add_co_u32 v0, vcc_lo, s0, v0
	v_add_co_ci_u32_e32 v1, vcc_lo, s1, v1, vcc_lo
	s_delay_alu instid0(VALU_DEP_4) | instskip(SKIP_1) | instid1(VALU_DEP_4)
	v_add3_u32 v7, v7, v9, v11
	v_lshlrev_b64 v[2:3], 2, v[2:3]
	v_add_co_u32 v4, vcc_lo, v0, v4
	s_delay_alu instid0(VALU_DEP_4) | instskip(NEXT) | instid1(VALU_DEP_4)
	v_add_co_ci_u32_e32 v5, vcc_lo, v1, v5, vcc_lo
	v_lshlrev_b64 v[0:1], 2, v[6:7]
	s_delay_alu instid0(VALU_DEP_4) | instskip(SKIP_2) | instid1(VALU_DEP_3)
	v_add_co_u32 v2, vcc_lo, v12, v2
	v_add_co_ci_u32_e32 v3, vcc_lo, v10, v3, vcc_lo
	s_mov_b32 s0, 0
	v_add_co_u32 v0, vcc_lo, v4, v0
	s_delay_alu instid0(VALU_DEP_4)
	v_add_co_ci_u32_e32 v1, vcc_lo, v5, v1, vcc_lo
	global_load_b32 v4, v[2:3], off
	global_load_b32 v3, v[0:1], off
.LBB7_14:                               ; =>This Inner Loop Header: Depth=1
	s_waitcnt vmcnt(0)
	v_add_f32_e32 v2, v3, v4
	global_atomic_cmpswap_b32 v2, v[0:1], v[2:3], off glc
	s_waitcnt vmcnt(0)
	v_cmp_eq_u32_e32 vcc_lo, v2, v3
	v_mov_b32_e32 v3, v2
	s_or_b32 s0, vcc_lo, s0
	s_delay_alu instid0(SALU_CYCLE_1)
	s_and_not1_b32 exec_lo, exec_lo, s0
	s_cbranch_execnz .LBB7_14
.LBB7_15:
	s_endpgm
	.section	.rodata,"a",@progbits
	.p2align	6, 0x0
	.amdhsa_kernel _ZN2at6native12_GLOBAL__N_131replication_pad_backward_kernelIfEEvN5torch10headeronly6detail27GenericPackedTensorAccessorINS5_14TensorAccessorIN3c108ArrayRefIlEET_Lm4ENS4_16DefaultPtrTraitsElEENS_6detail16IndexBoundsCheckILm5ElEESB_Lm5ESC_lEENS6_INS7_ISA_KSB_Lm4ESC_lEESG_SI_Lm5ESC_lEEiiiii
		.amdhsa_group_segment_fixed_size 0
		.amdhsa_private_segment_fixed_size 0
		.amdhsa_kernarg_size 456
		.amdhsa_user_sgpr_count 13
		.amdhsa_user_sgpr_dispatch_ptr 0
		.amdhsa_user_sgpr_queue_ptr 0
		.amdhsa_user_sgpr_kernarg_segment_ptr 1
		.amdhsa_user_sgpr_dispatch_id 0
		.amdhsa_user_sgpr_private_segment_size 0
		.amdhsa_wavefront_size32 1
		.amdhsa_uses_dynamic_stack 0
		.amdhsa_enable_private_segment 0
		.amdhsa_system_sgpr_workgroup_id_x 1
		.amdhsa_system_sgpr_workgroup_id_y 1
		.amdhsa_system_sgpr_workgroup_id_z 1
		.amdhsa_system_sgpr_workgroup_info 0
		.amdhsa_system_vgpr_workitem_id 0
		.amdhsa_next_free_vgpr 17
		.amdhsa_next_free_sgpr 40
		.amdhsa_reserve_vcc 1
		.amdhsa_float_round_mode_32 0
		.amdhsa_float_round_mode_16_64 0
		.amdhsa_float_denorm_mode_32 3
		.amdhsa_float_denorm_mode_16_64 3
		.amdhsa_dx10_clamp 1
		.amdhsa_ieee_mode 1
		.amdhsa_fp16_overflow 0
		.amdhsa_workgroup_processor_mode 1
		.amdhsa_memory_ordered 1
		.amdhsa_forward_progress 0
		.amdhsa_shared_vgpr_count 0
		.amdhsa_exception_fp_ieee_invalid_op 0
		.amdhsa_exception_fp_denorm_src 0
		.amdhsa_exception_fp_ieee_div_zero 0
		.amdhsa_exception_fp_ieee_overflow 0
		.amdhsa_exception_fp_ieee_underflow 0
		.amdhsa_exception_fp_ieee_inexact 0
		.amdhsa_exception_int_div_zero 0
	.end_amdhsa_kernel
	.section	.text._ZN2at6native12_GLOBAL__N_131replication_pad_backward_kernelIfEEvN5torch10headeronly6detail27GenericPackedTensorAccessorINS5_14TensorAccessorIN3c108ArrayRefIlEET_Lm4ENS4_16DefaultPtrTraitsElEENS_6detail16IndexBoundsCheckILm5ElEESB_Lm5ESC_lEENS6_INS7_ISA_KSB_Lm4ESC_lEESG_SI_Lm5ESC_lEEiiiii,"axG",@progbits,_ZN2at6native12_GLOBAL__N_131replication_pad_backward_kernelIfEEvN5torch10headeronly6detail27GenericPackedTensorAccessorINS5_14TensorAccessorIN3c108ArrayRefIlEET_Lm4ENS4_16DefaultPtrTraitsElEENS_6detail16IndexBoundsCheckILm5ElEESB_Lm5ESC_lEENS6_INS7_ISA_KSB_Lm4ESC_lEESG_SI_Lm5ESC_lEEiiiii,comdat
.Lfunc_end7:
	.size	_ZN2at6native12_GLOBAL__N_131replication_pad_backward_kernelIfEEvN5torch10headeronly6detail27GenericPackedTensorAccessorINS5_14TensorAccessorIN3c108ArrayRefIlEET_Lm4ENS4_16DefaultPtrTraitsElEENS_6detail16IndexBoundsCheckILm5ElEESB_Lm5ESC_lEENS6_INS7_ISA_KSB_Lm4ESC_lEESG_SI_Lm5ESC_lEEiiiii, .Lfunc_end7-_ZN2at6native12_GLOBAL__N_131replication_pad_backward_kernelIfEEvN5torch10headeronly6detail27GenericPackedTensorAccessorINS5_14TensorAccessorIN3c108ArrayRefIlEET_Lm4ENS4_16DefaultPtrTraitsElEENS_6detail16IndexBoundsCheckILm5ElEESB_Lm5ESC_lEENS6_INS7_ISA_KSB_Lm4ESC_lEESG_SI_Lm5ESC_lEEiiiii
                                        ; -- End function
	.section	.AMDGPU.csdata,"",@progbits
; Kernel info:
; codeLenInByte = 3820
; NumSgprs: 42
; NumVgprs: 17
; ScratchSize: 0
; MemoryBound: 0
; FloatMode: 240
; IeeeMode: 1
; LDSByteSize: 0 bytes/workgroup (compile time only)
; SGPRBlocks: 5
; VGPRBlocks: 2
; NumSGPRsForWavesPerEU: 42
; NumVGPRsForWavesPerEU: 17
; Occupancy: 16
; WaveLimiterHint : 1
; COMPUTE_PGM_RSRC2:SCRATCH_EN: 0
; COMPUTE_PGM_RSRC2:USER_SGPR: 13
; COMPUTE_PGM_RSRC2:TRAP_HANDLER: 0
; COMPUTE_PGM_RSRC2:TGID_X_EN: 1
; COMPUTE_PGM_RSRC2:TGID_Y_EN: 1
; COMPUTE_PGM_RSRC2:TGID_Z_EN: 1
; COMPUTE_PGM_RSRC2:TIDIG_COMP_CNT: 0
	.section	.text._ZN2at6native12_GLOBAL__N_131replication_pad_backward_kernelIN3c107complexIdEEEEvN5torch10headeronly6detail27GenericPackedTensorAccessorINS8_14TensorAccessorINS3_8ArrayRefIlEET_Lm4ENS7_16DefaultPtrTraitsElEENS_6detail16IndexBoundsCheckILm5ElEESD_Lm5ESE_lEENS9_INSA_ISC_KSD_Lm4ESE_lEESI_SK_Lm5ESE_lEEiiiii,"axG",@progbits,_ZN2at6native12_GLOBAL__N_131replication_pad_backward_kernelIN3c107complexIdEEEEvN5torch10headeronly6detail27GenericPackedTensorAccessorINS8_14TensorAccessorINS3_8ArrayRefIlEET_Lm4ENS7_16DefaultPtrTraitsElEENS_6detail16IndexBoundsCheckILm5ElEESD_Lm5ESE_lEENS9_INSA_ISC_KSD_Lm4ESE_lEESI_SK_Lm5ESE_lEEiiiii,comdat
	.globl	_ZN2at6native12_GLOBAL__N_131replication_pad_backward_kernelIN3c107complexIdEEEEvN5torch10headeronly6detail27GenericPackedTensorAccessorINS8_14TensorAccessorINS3_8ArrayRefIlEET_Lm4ENS7_16DefaultPtrTraitsElEENS_6detail16IndexBoundsCheckILm5ElEESD_Lm5ESE_lEENS9_INSA_ISC_KSD_Lm4ESE_lEESI_SK_Lm5ESE_lEEiiiii ; -- Begin function _ZN2at6native12_GLOBAL__N_131replication_pad_backward_kernelIN3c107complexIdEEEEvN5torch10headeronly6detail27GenericPackedTensorAccessorINS8_14TensorAccessorINS3_8ArrayRefIlEET_Lm4ENS7_16DefaultPtrTraitsElEENS_6detail16IndexBoundsCheckILm5ElEESD_Lm5ESE_lEENS9_INSA_ISC_KSD_Lm4ESE_lEESI_SK_Lm5ESE_lEEiiiii
	.p2align	8
	.type	_ZN2at6native12_GLOBAL__N_131replication_pad_backward_kernelIN3c107complexIdEEEEvN5torch10headeronly6detail27GenericPackedTensorAccessorINS8_14TensorAccessorINS3_8ArrayRefIlEET_Lm4ENS7_16DefaultPtrTraitsElEENS_6detail16IndexBoundsCheckILm5ElEESD_Lm5ESE_lEENS9_INSA_ISC_KSD_Lm4ESE_lEESI_SK_Lm5ESE_lEEiiiii,@function
_ZN2at6native12_GLOBAL__N_131replication_pad_backward_kernelIN3c107complexIdEEEEvN5torch10headeronly6detail27GenericPackedTensorAccessorINS8_14TensorAccessorINS3_8ArrayRefIlEET_Lm4ENS7_16DefaultPtrTraitsElEENS_6detail16IndexBoundsCheckILm5ElEESD_Lm5ESE_lEENS9_INSA_ISC_KSD_Lm4ESE_lEESI_SK_Lm5ESE_lEEiiiii: ; @_ZN2at6native12_GLOBAL__N_131replication_pad_backward_kernelIN3c107complexIdEEEEvN5torch10headeronly6detail27GenericPackedTensorAccessorINS8_14TensorAccessorINS3_8ArrayRefIlEET_Lm4ENS7_16DefaultPtrTraitsElEENS_6detail16IndexBoundsCheckILm5ElEESD_Lm5ESE_lEENS9_INSA_ISC_KSD_Lm4ESE_lEESI_SK_Lm5ESE_lEEiiiii
; %bb.0:
	s_clause 0x2
	s_load_b32 s2, s[0:1], 0xd4
	s_load_b128 s[4:7], s[0:1], 0x70
	s_load_b64 s[8:9], s[0:1], 0x80
	s_waitcnt lgkmcnt(0)
	s_and_b32 s2, s2, 0xffff
	s_delay_alu instid0(SALU_CYCLE_1)
	v_mad_u64_u32 v[1:2], null, s13, s2, v[0:1]
	s_mul_i32 s10, s8, s7
	s_mul_hi_u32 s11, s8, s6
	s_mul_i32 s2, s9, s6
	s_mul_i32 s3, s8, s6
	s_add_i32 s12, s11, s10
	s_mul_i32 s5, s3, s5
	s_mul_hi_u32 s10, s3, s4
	s_add_i32 s12, s12, s2
	v_ashrrev_i32_e32 v2, 31, v1
	s_add_i32 s2, s10, s5
	s_mul_i32 s5, s12, s4
	s_mul_i32 s4, s3, s4
	s_add_i32 s5, s2, s5
	s_mov_b32 s2, exec_lo
	v_cmpx_gt_i64_e64 s[4:5], v[1:2]
	s_cbranch_execz .LBB8_17
; %bb.1:
	v_or_b32_e32 v4, s9, v2
	v_mov_b32_e32 v3, 0
	s_delay_alu instid0(VALU_DEP_1) | instskip(SKIP_1) | instid1(SALU_CYCLE_1)
	v_cmp_ne_u64_e32 vcc_lo, 0, v[3:4]
                                        ; implicit-def: $vgpr3_vgpr4
	s_and_saveexec_b32 s2, vcc_lo
	s_xor_b32 s13, exec_lo, s2
	s_cbranch_execz .LBB8_3
; %bb.2:
	s_ashr_i32 s4, s9, 31
	s_delay_alu instid0(SALU_CYCLE_1) | instskip(SKIP_2) | instid1(SALU_CYCLE_1)
	s_add_u32 s10, s8, s4
	s_mov_b32 s5, s4
	s_addc_u32 s11, s9, s4
	s_xor_b64 s[10:11], s[10:11], s[4:5]
	s_delay_alu instid0(SALU_CYCLE_1) | instskip(SKIP_3) | instid1(VALU_DEP_1)
	v_cvt_f32_u32_e32 v0, s10
	v_cvt_f32_u32_e32 v3, s11
	s_sub_u32 s2, 0, s10
	s_subb_u32 s5, 0, s11
	v_fmamk_f32 v0, v3, 0x4f800000, v0
	s_delay_alu instid0(VALU_DEP_1) | instskip(SKIP_2) | instid1(VALU_DEP_1)
	v_rcp_f32_e32 v0, v0
	s_waitcnt_depctr 0xfff
	v_mul_f32_e32 v0, 0x5f7ffffc, v0
	v_mul_f32_e32 v3, 0x2f800000, v0
	s_delay_alu instid0(VALU_DEP_1) | instskip(NEXT) | instid1(VALU_DEP_1)
	v_trunc_f32_e32 v3, v3
	v_fmamk_f32 v0, v3, 0xcf800000, v0
	v_cvt_u32_f32_e32 v3, v3
	s_delay_alu instid0(VALU_DEP_2) | instskip(NEXT) | instid1(VALU_DEP_2)
	v_cvt_u32_f32_e32 v0, v0
	v_mul_lo_u32 v4, s2, v3
	s_delay_alu instid0(VALU_DEP_2) | instskip(SKIP_1) | instid1(VALU_DEP_2)
	v_mul_hi_u32 v5, s2, v0
	v_mul_lo_u32 v6, s5, v0
	v_add_nc_u32_e32 v4, v5, v4
	v_mul_lo_u32 v5, s2, v0
	s_delay_alu instid0(VALU_DEP_2) | instskip(NEXT) | instid1(VALU_DEP_2)
	v_add_nc_u32_e32 v4, v4, v6
	v_mul_hi_u32 v6, v0, v5
	s_delay_alu instid0(VALU_DEP_2)
	v_mul_lo_u32 v7, v0, v4
	v_mul_hi_u32 v8, v0, v4
	v_mul_hi_u32 v9, v3, v5
	v_mul_lo_u32 v5, v3, v5
	v_mul_hi_u32 v10, v3, v4
	v_mul_lo_u32 v4, v3, v4
	v_add_co_u32 v6, vcc_lo, v6, v7
	v_add_co_ci_u32_e32 v7, vcc_lo, 0, v8, vcc_lo
	s_delay_alu instid0(VALU_DEP_2) | instskip(NEXT) | instid1(VALU_DEP_2)
	v_add_co_u32 v5, vcc_lo, v6, v5
	v_add_co_ci_u32_e32 v5, vcc_lo, v7, v9, vcc_lo
	v_add_co_ci_u32_e32 v6, vcc_lo, 0, v10, vcc_lo
	v_ashrrev_i32_e32 v9, 31, v2
	s_delay_alu instid0(VALU_DEP_3) | instskip(NEXT) | instid1(VALU_DEP_3)
	v_add_co_u32 v4, vcc_lo, v5, v4
	v_add_co_ci_u32_e32 v5, vcc_lo, 0, v6, vcc_lo
	s_delay_alu instid0(VALU_DEP_2) | instskip(NEXT) | instid1(VALU_DEP_2)
	v_add_co_u32 v0, vcc_lo, v0, v4
	v_add_co_ci_u32_e32 v3, vcc_lo, v3, v5, vcc_lo
	s_delay_alu instid0(VALU_DEP_2) | instskip(SKIP_1) | instid1(VALU_DEP_3)
	v_mul_hi_u32 v4, s2, v0
	v_mul_lo_u32 v6, s5, v0
	v_mul_lo_u32 v5, s2, v3
	s_delay_alu instid0(VALU_DEP_1) | instskip(SKIP_1) | instid1(VALU_DEP_2)
	v_add_nc_u32_e32 v4, v4, v5
	v_mul_lo_u32 v5, s2, v0
	v_add_nc_u32_e32 v4, v4, v6
	s_delay_alu instid0(VALU_DEP_2) | instskip(NEXT) | instid1(VALU_DEP_2)
	v_mul_hi_u32 v6, v0, v5
	v_mul_lo_u32 v7, v0, v4
	v_mul_hi_u32 v8, v0, v4
	v_mul_hi_u32 v10, v3, v5
	v_mul_lo_u32 v5, v3, v5
	v_mul_hi_u32 v11, v3, v4
	v_mul_lo_u32 v4, v3, v4
	v_add_co_u32 v6, vcc_lo, v6, v7
	v_add_co_ci_u32_e32 v7, vcc_lo, 0, v8, vcc_lo
	s_delay_alu instid0(VALU_DEP_2) | instskip(NEXT) | instid1(VALU_DEP_2)
	v_add_co_u32 v5, vcc_lo, v6, v5
	v_add_co_ci_u32_e32 v5, vcc_lo, v7, v10, vcc_lo
	v_add_co_ci_u32_e32 v6, vcc_lo, 0, v11, vcc_lo
	v_add_co_u32 v7, vcc_lo, v1, v9
	v_add_co_ci_u32_e32 v8, vcc_lo, v2, v9, vcc_lo
	s_delay_alu instid0(VALU_DEP_4) | instskip(NEXT) | instid1(VALU_DEP_4)
	v_add_co_u32 v4, vcc_lo, v5, v4
	v_add_co_ci_u32_e32 v5, vcc_lo, 0, v6, vcc_lo
	s_delay_alu instid0(VALU_DEP_4) | instskip(NEXT) | instid1(VALU_DEP_3)
	v_xor_b32_e32 v10, v7, v9
	v_add_co_u32 v0, vcc_lo, v0, v4
	s_delay_alu instid0(VALU_DEP_3) | instskip(SKIP_1) | instid1(VALU_DEP_3)
	v_add_co_ci_u32_e32 v11, vcc_lo, v3, v5, vcc_lo
	v_xor_b32_e32 v12, v8, v9
	v_mul_hi_u32 v13, v10, v0
	s_delay_alu instid0(VALU_DEP_3) | instskip(NEXT) | instid1(VALU_DEP_3)
	v_mad_u64_u32 v[3:4], null, v10, v11, 0
	v_mad_u64_u32 v[5:6], null, v12, v0, 0
	;; [unrolled: 1-line block ×3, first 2 shown]
	s_delay_alu instid0(VALU_DEP_3) | instskip(NEXT) | instid1(VALU_DEP_4)
	v_add_co_u32 v0, vcc_lo, v13, v3
	v_add_co_ci_u32_e32 v3, vcc_lo, 0, v4, vcc_lo
	s_delay_alu instid0(VALU_DEP_2) | instskip(NEXT) | instid1(VALU_DEP_2)
	v_add_co_u32 v0, vcc_lo, v0, v5
	v_add_co_ci_u32_e32 v0, vcc_lo, v3, v6, vcc_lo
	v_add_co_ci_u32_e32 v3, vcc_lo, 0, v8, vcc_lo
	s_delay_alu instid0(VALU_DEP_2) | instskip(NEXT) | instid1(VALU_DEP_2)
	v_add_co_u32 v0, vcc_lo, v0, v7
	v_add_co_ci_u32_e32 v5, vcc_lo, 0, v3, vcc_lo
	s_delay_alu instid0(VALU_DEP_2) | instskip(SKIP_1) | instid1(VALU_DEP_3)
	v_mul_lo_u32 v6, s11, v0
	v_mad_u64_u32 v[3:4], null, s10, v0, 0
	v_mul_lo_u32 v7, s10, v5
	s_delay_alu instid0(VALU_DEP_2) | instskip(NEXT) | instid1(VALU_DEP_2)
	v_sub_co_u32 v3, vcc_lo, v10, v3
	v_add3_u32 v4, v4, v7, v6
	s_delay_alu instid0(VALU_DEP_1) | instskip(NEXT) | instid1(VALU_DEP_1)
	v_sub_nc_u32_e32 v6, v12, v4
	v_subrev_co_ci_u32_e64 v6, s2, s11, v6, vcc_lo
	v_add_co_u32 v7, s2, v0, 2
	s_delay_alu instid0(VALU_DEP_1) | instskip(SKIP_3) | instid1(VALU_DEP_3)
	v_add_co_ci_u32_e64 v8, s2, 0, v5, s2
	v_sub_co_u32 v10, s2, v3, s10
	v_sub_co_ci_u32_e32 v4, vcc_lo, v12, v4, vcc_lo
	v_subrev_co_ci_u32_e64 v6, s2, 0, v6, s2
	v_cmp_le_u32_e32 vcc_lo, s10, v10
	s_delay_alu instid0(VALU_DEP_3) | instskip(SKIP_1) | instid1(VALU_DEP_4)
	v_cmp_eq_u32_e64 s2, s11, v4
	v_cndmask_b32_e64 v10, 0, -1, vcc_lo
	v_cmp_le_u32_e32 vcc_lo, s11, v6
	v_cndmask_b32_e64 v11, 0, -1, vcc_lo
	v_cmp_le_u32_e32 vcc_lo, s10, v3
	v_cndmask_b32_e64 v3, 0, -1, vcc_lo
	v_cmp_le_u32_e32 vcc_lo, s11, v4
	v_cndmask_b32_e64 v12, 0, -1, vcc_lo
	v_cmp_eq_u32_e32 vcc_lo, s11, v6
	s_delay_alu instid0(VALU_DEP_2) | instskip(SKIP_3) | instid1(VALU_DEP_3)
	v_cndmask_b32_e64 v3, v12, v3, s2
	v_cndmask_b32_e32 v6, v11, v10, vcc_lo
	v_add_co_u32 v10, vcc_lo, v0, 1
	v_add_co_ci_u32_e32 v11, vcc_lo, 0, v5, vcc_lo
	v_cmp_ne_u32_e32 vcc_lo, 0, v6
	s_delay_alu instid0(VALU_DEP_2) | instskip(NEXT) | instid1(VALU_DEP_4)
	v_cndmask_b32_e32 v4, v11, v8, vcc_lo
	v_cndmask_b32_e32 v6, v10, v7, vcc_lo
	v_cmp_ne_u32_e32 vcc_lo, 0, v3
	v_xor_b32_e32 v7, s4, v9
	s_delay_alu instid0(VALU_DEP_3) | instskip(NEXT) | instid1(VALU_DEP_1)
	v_dual_cndmask_b32 v0, v0, v6 :: v_dual_cndmask_b32 v3, v5, v4
	v_xor_b32_e32 v0, v0, v7
	s_delay_alu instid0(VALU_DEP_2) | instskip(NEXT) | instid1(VALU_DEP_2)
	v_xor_b32_e32 v4, v3, v7
	v_sub_co_u32 v3, vcc_lo, v0, v7
	s_delay_alu instid0(VALU_DEP_2)
	v_sub_co_ci_u32_e32 v4, vcc_lo, v4, v7, vcc_lo
.LBB8_3:
	s_and_not1_saveexec_b32 s2, s13
	s_cbranch_execz .LBB8_5
; %bb.4:
	v_cvt_f32_u32_e32 v0, s8
	s_sub_i32 s4, 0, s8
	s_delay_alu instid0(VALU_DEP_1) | instskip(SKIP_2) | instid1(VALU_DEP_1)
	v_rcp_iflag_f32_e32 v0, v0
	s_waitcnt_depctr 0xfff
	v_mul_f32_e32 v0, 0x4f7ffffe, v0
	v_cvt_u32_f32_e32 v0, v0
	s_delay_alu instid0(VALU_DEP_1) | instskip(NEXT) | instid1(VALU_DEP_1)
	v_mul_lo_u32 v3, s4, v0
	v_mul_hi_u32 v3, v0, v3
	s_delay_alu instid0(VALU_DEP_1) | instskip(NEXT) | instid1(VALU_DEP_1)
	v_add_nc_u32_e32 v0, v0, v3
	v_mul_hi_u32 v0, v1, v0
	s_delay_alu instid0(VALU_DEP_1) | instskip(SKIP_1) | instid1(VALU_DEP_2)
	v_mul_lo_u32 v3, v0, s8
	v_add_nc_u32_e32 v4, 1, v0
	v_sub_nc_u32_e32 v3, v1, v3
	s_delay_alu instid0(VALU_DEP_1) | instskip(SKIP_1) | instid1(VALU_DEP_2)
	v_subrev_nc_u32_e32 v5, s8, v3
	v_cmp_le_u32_e32 vcc_lo, s8, v3
	v_dual_cndmask_b32 v3, v3, v5 :: v_dual_cndmask_b32 v0, v0, v4
	s_delay_alu instid0(VALU_DEP_1) | instskip(NEXT) | instid1(VALU_DEP_2)
	v_cmp_le_u32_e32 vcc_lo, s8, v3
	v_add_nc_u32_e32 v4, 1, v0
	s_delay_alu instid0(VALU_DEP_1)
	v_dual_cndmask_b32 v3, v0, v4 :: v_dual_mov_b32 v4, 0
.LBB8_5:
	s_or_b32 exec_lo, exec_lo, s2
	s_delay_alu instid0(VALU_DEP_1) | instskip(SKIP_1) | instid1(VALU_DEP_1)
	v_or_b32_e32 v6, s7, v4
	v_mov_b32_e32 v5, 0
	v_cmp_ne_u64_e32 vcc_lo, 0, v[5:6]
                                        ; implicit-def: $vgpr5_vgpr6
	s_and_saveexec_b32 s2, vcc_lo
	s_delay_alu instid0(SALU_CYCLE_1)
	s_xor_b32 s10, exec_lo, s2
	s_cbranch_execz .LBB8_7
; %bb.6:
	s_ashr_i32 s4, s7, 31
	s_delay_alu instid0(SALU_CYCLE_1) | instskip(SKIP_2) | instid1(SALU_CYCLE_1)
	s_add_u32 s16, s6, s4
	s_mov_b32 s5, s4
	s_addc_u32 s17, s7, s4
	s_xor_b64 s[4:5], s[16:17], s[4:5]
	s_delay_alu instid0(SALU_CYCLE_1) | instskip(SKIP_3) | instid1(VALU_DEP_1)
	v_cvt_f32_u32_e32 v0, s4
	v_cvt_f32_u32_e32 v5, s5
	s_sub_u32 s2, 0, s4
	s_subb_u32 s7, 0, s5
	v_fmamk_f32 v0, v5, 0x4f800000, v0
	s_delay_alu instid0(VALU_DEP_1) | instskip(SKIP_2) | instid1(VALU_DEP_1)
	v_rcp_f32_e32 v0, v0
	s_waitcnt_depctr 0xfff
	v_mul_f32_e32 v0, 0x5f7ffffc, v0
	v_mul_f32_e32 v5, 0x2f800000, v0
	s_delay_alu instid0(VALU_DEP_1) | instskip(NEXT) | instid1(VALU_DEP_1)
	v_trunc_f32_e32 v5, v5
	v_fmamk_f32 v0, v5, 0xcf800000, v0
	v_cvt_u32_f32_e32 v5, v5
	s_delay_alu instid0(VALU_DEP_2) | instskip(NEXT) | instid1(VALU_DEP_2)
	v_cvt_u32_f32_e32 v0, v0
	v_mul_lo_u32 v6, s2, v5
	s_delay_alu instid0(VALU_DEP_2) | instskip(SKIP_1) | instid1(VALU_DEP_2)
	v_mul_hi_u32 v7, s2, v0
	v_mul_lo_u32 v8, s7, v0
	v_add_nc_u32_e32 v6, v7, v6
	v_mul_lo_u32 v7, s2, v0
	s_delay_alu instid0(VALU_DEP_2) | instskip(NEXT) | instid1(VALU_DEP_2)
	v_add_nc_u32_e32 v6, v6, v8
	v_mul_hi_u32 v8, v0, v7
	s_delay_alu instid0(VALU_DEP_2)
	v_mul_lo_u32 v9, v0, v6
	v_mul_hi_u32 v10, v0, v6
	v_mul_hi_u32 v11, v5, v7
	v_mul_lo_u32 v7, v5, v7
	v_mul_hi_u32 v12, v5, v6
	v_mul_lo_u32 v6, v5, v6
	v_add_co_u32 v8, vcc_lo, v8, v9
	v_add_co_ci_u32_e32 v9, vcc_lo, 0, v10, vcc_lo
	s_delay_alu instid0(VALU_DEP_2) | instskip(NEXT) | instid1(VALU_DEP_2)
	v_add_co_u32 v7, vcc_lo, v8, v7
	v_add_co_ci_u32_e32 v7, vcc_lo, v9, v11, vcc_lo
	v_add_co_ci_u32_e32 v8, vcc_lo, 0, v12, vcc_lo
	v_ashrrev_i32_e32 v11, 31, v4
	s_delay_alu instid0(VALU_DEP_3) | instskip(NEXT) | instid1(VALU_DEP_3)
	v_add_co_u32 v6, vcc_lo, v7, v6
	v_add_co_ci_u32_e32 v7, vcc_lo, 0, v8, vcc_lo
	s_delay_alu instid0(VALU_DEP_2) | instskip(NEXT) | instid1(VALU_DEP_2)
	v_add_co_u32 v0, vcc_lo, v0, v6
	v_add_co_ci_u32_e32 v5, vcc_lo, v5, v7, vcc_lo
	s_delay_alu instid0(VALU_DEP_2) | instskip(SKIP_1) | instid1(VALU_DEP_3)
	v_mul_hi_u32 v6, s2, v0
	v_mul_lo_u32 v8, s7, v0
	v_mul_lo_u32 v7, s2, v5
	s_delay_alu instid0(VALU_DEP_1) | instskip(SKIP_1) | instid1(VALU_DEP_2)
	v_add_nc_u32_e32 v6, v6, v7
	v_mul_lo_u32 v7, s2, v0
	v_add_nc_u32_e32 v6, v6, v8
	s_delay_alu instid0(VALU_DEP_2) | instskip(NEXT) | instid1(VALU_DEP_2)
	v_mul_hi_u32 v8, v0, v7
	v_mul_lo_u32 v9, v0, v6
	v_mul_hi_u32 v10, v0, v6
	v_mul_hi_u32 v12, v5, v7
	v_mul_lo_u32 v7, v5, v7
	v_mul_hi_u32 v13, v5, v6
	v_mul_lo_u32 v6, v5, v6
	v_add_co_u32 v8, vcc_lo, v8, v9
	v_add_co_ci_u32_e32 v9, vcc_lo, 0, v10, vcc_lo
	s_delay_alu instid0(VALU_DEP_2) | instskip(NEXT) | instid1(VALU_DEP_2)
	v_add_co_u32 v7, vcc_lo, v8, v7
	v_add_co_ci_u32_e32 v7, vcc_lo, v9, v12, vcc_lo
	v_add_co_ci_u32_e32 v8, vcc_lo, 0, v13, vcc_lo
	v_add_co_u32 v9, vcc_lo, v3, v11
	v_add_co_ci_u32_e32 v10, vcc_lo, v4, v11, vcc_lo
	s_delay_alu instid0(VALU_DEP_4) | instskip(NEXT) | instid1(VALU_DEP_4)
	v_add_co_u32 v6, vcc_lo, v7, v6
	v_add_co_ci_u32_e32 v7, vcc_lo, 0, v8, vcc_lo
	s_delay_alu instid0(VALU_DEP_4) | instskip(NEXT) | instid1(VALU_DEP_3)
	v_xor_b32_e32 v12, v9, v11
	v_add_co_u32 v0, vcc_lo, v0, v6
	s_delay_alu instid0(VALU_DEP_3) | instskip(SKIP_1) | instid1(VALU_DEP_3)
	v_add_co_ci_u32_e32 v13, vcc_lo, v5, v7, vcc_lo
	v_xor_b32_e32 v14, v10, v11
	v_mul_hi_u32 v15, v12, v0
	s_delay_alu instid0(VALU_DEP_3) | instskip(NEXT) | instid1(VALU_DEP_3)
	v_mad_u64_u32 v[5:6], null, v12, v13, 0
	v_mad_u64_u32 v[7:8], null, v14, v0, 0
	;; [unrolled: 1-line block ×3, first 2 shown]
	s_delay_alu instid0(VALU_DEP_3) | instskip(NEXT) | instid1(VALU_DEP_4)
	v_add_co_u32 v0, vcc_lo, v15, v5
	v_add_co_ci_u32_e32 v5, vcc_lo, 0, v6, vcc_lo
	s_delay_alu instid0(VALU_DEP_2) | instskip(NEXT) | instid1(VALU_DEP_2)
	v_add_co_u32 v0, vcc_lo, v0, v7
	v_add_co_ci_u32_e32 v0, vcc_lo, v5, v8, vcc_lo
	v_add_co_ci_u32_e32 v5, vcc_lo, 0, v10, vcc_lo
	s_delay_alu instid0(VALU_DEP_2) | instskip(NEXT) | instid1(VALU_DEP_2)
	v_add_co_u32 v0, vcc_lo, v0, v9
	v_add_co_ci_u32_e32 v7, vcc_lo, 0, v5, vcc_lo
	s_delay_alu instid0(VALU_DEP_2) | instskip(SKIP_1) | instid1(VALU_DEP_3)
	v_mul_lo_u32 v8, s5, v0
	v_mad_u64_u32 v[5:6], null, s4, v0, 0
	v_mul_lo_u32 v0, s4, v7
	s_delay_alu instid0(VALU_DEP_2) | instskip(NEXT) | instid1(VALU_DEP_2)
	v_sub_co_u32 v5, vcc_lo, v12, v5
	v_add3_u32 v0, v6, v0, v8
	s_delay_alu instid0(VALU_DEP_1) | instskip(NEXT) | instid1(VALU_DEP_1)
	v_sub_nc_u32_e32 v6, v14, v0
	v_subrev_co_ci_u32_e64 v6, s2, s5, v6, vcc_lo
	s_delay_alu instid0(VALU_DEP_4) | instskip(SKIP_1) | instid1(VALU_DEP_3)
	v_sub_co_u32 v7, s2, v5, s4
	v_sub_co_ci_u32_e32 v0, vcc_lo, v14, v0, vcc_lo
	v_subrev_co_ci_u32_e64 v6, s2, 0, v6, s2
	s_delay_alu instid0(VALU_DEP_3) | instskip(SKIP_1) | instid1(VALU_DEP_3)
	v_cmp_le_u32_e32 vcc_lo, s4, v7
	v_cndmask_b32_e64 v8, 0, -1, vcc_lo
	v_cmp_le_u32_e32 vcc_lo, s5, v6
	v_cndmask_b32_e64 v9, 0, -1, vcc_lo
	;; [unrolled: 2-line block ×4, first 2 shown]
	v_cmp_eq_u32_e32 vcc_lo, s5, v6
	v_cndmask_b32_e32 v6, v9, v8, vcc_lo
	v_sub_co_u32 v8, vcc_lo, v7, s4
	v_cmp_eq_u32_e32 vcc_lo, s5, v0
	v_cndmask_b32_e32 v0, v12, v10, vcc_lo
	s_delay_alu instid0(VALU_DEP_4) | instskip(NEXT) | instid1(VALU_DEP_4)
	v_cmp_ne_u32_e32 vcc_lo, 0, v6
	v_cndmask_b32_e32 v6, v7, v8, vcc_lo
	s_delay_alu instid0(VALU_DEP_3) | instskip(NEXT) | instid1(VALU_DEP_2)
	v_cmp_ne_u32_e32 vcc_lo, 0, v0
	v_cndmask_b32_e32 v0, v5, v6, vcc_lo
	s_delay_alu instid0(VALU_DEP_1) | instskip(NEXT) | instid1(VALU_DEP_1)
	v_xor_b32_e32 v0, v0, v11
	v_sub_co_u32 v5, vcc_lo, v0, v11
.LBB8_7:
	s_and_not1_saveexec_b32 s2, s10
	s_cbranch_execz .LBB8_9
; %bb.8:
	v_cvt_f32_u32_e32 v0, s6
	s_sub_i32 s4, 0, s6
	s_delay_alu instid0(VALU_DEP_1) | instskip(SKIP_2) | instid1(VALU_DEP_1)
	v_rcp_iflag_f32_e32 v0, v0
	s_waitcnt_depctr 0xfff
	v_mul_f32_e32 v0, 0x4f7ffffe, v0
	v_cvt_u32_f32_e32 v0, v0
	s_delay_alu instid0(VALU_DEP_1) | instskip(NEXT) | instid1(VALU_DEP_1)
	v_mul_lo_u32 v5, s4, v0
	v_mul_hi_u32 v5, v0, v5
	s_delay_alu instid0(VALU_DEP_1) | instskip(NEXT) | instid1(VALU_DEP_1)
	v_add_nc_u32_e32 v0, v0, v5
	v_mul_hi_u32 v0, v3, v0
	s_delay_alu instid0(VALU_DEP_1) | instskip(NEXT) | instid1(VALU_DEP_1)
	v_mul_lo_u32 v0, v0, s6
	v_sub_nc_u32_e32 v0, v3, v0
	s_delay_alu instid0(VALU_DEP_1) | instskip(SKIP_1) | instid1(VALU_DEP_2)
	v_subrev_nc_u32_e32 v5, s6, v0
	v_cmp_le_u32_e32 vcc_lo, s6, v0
	v_cndmask_b32_e32 v0, v0, v5, vcc_lo
	s_delay_alu instid0(VALU_DEP_1) | instskip(SKIP_1) | instid1(VALU_DEP_2)
	v_subrev_nc_u32_e32 v5, s6, v0
	v_cmp_le_u32_e32 vcc_lo, s6, v0
	v_cndmask_b32_e32 v5, v0, v5, vcc_lo
.LBB8_9:
	s_or_b32 exec_lo, exec_lo, s2
	v_or_b32_e32 v7, s12, v2
	v_mov_b32_e32 v6, 0
	s_delay_alu instid0(VALU_DEP_1) | instskip(SKIP_1) | instid1(SALU_CYCLE_1)
	v_cmp_ne_u64_e32 vcc_lo, 0, v[6:7]
                                        ; implicit-def: $vgpr6_vgpr7
	s_and_saveexec_b32 s2, vcc_lo
	s_xor_b32 s10, exec_lo, s2
	s_cbranch_execz .LBB8_11
; %bb.10:
	s_ashr_i32 s4, s12, 31
	s_delay_alu instid0(SALU_CYCLE_1) | instskip(SKIP_2) | instid1(SALU_CYCLE_1)
	s_add_u32 s6, s3, s4
	s_mov_b32 s5, s4
	s_addc_u32 s7, s12, s4
	s_xor_b64 s[6:7], s[6:7], s[4:5]
	s_delay_alu instid0(SALU_CYCLE_1) | instskip(SKIP_3) | instid1(VALU_DEP_1)
	v_cvt_f32_u32_e32 v0, s6
	v_cvt_f32_u32_e32 v6, s7
	s_sub_u32 s2, 0, s6
	s_subb_u32 s5, 0, s7
	v_fmamk_f32 v0, v6, 0x4f800000, v0
	s_delay_alu instid0(VALU_DEP_1) | instskip(SKIP_2) | instid1(VALU_DEP_1)
	v_rcp_f32_e32 v0, v0
	s_waitcnt_depctr 0xfff
	v_mul_f32_e32 v0, 0x5f7ffffc, v0
	v_mul_f32_e32 v6, 0x2f800000, v0
	s_delay_alu instid0(VALU_DEP_1) | instskip(NEXT) | instid1(VALU_DEP_1)
	v_trunc_f32_e32 v6, v6
	v_fmamk_f32 v0, v6, 0xcf800000, v0
	v_cvt_u32_f32_e32 v6, v6
	s_delay_alu instid0(VALU_DEP_2) | instskip(NEXT) | instid1(VALU_DEP_2)
	v_cvt_u32_f32_e32 v0, v0
	v_mul_lo_u32 v7, s2, v6
	s_delay_alu instid0(VALU_DEP_2) | instskip(SKIP_1) | instid1(VALU_DEP_2)
	v_mul_hi_u32 v8, s2, v0
	v_mul_lo_u32 v9, s5, v0
	v_add_nc_u32_e32 v7, v8, v7
	v_mul_lo_u32 v8, s2, v0
	s_delay_alu instid0(VALU_DEP_2) | instskip(NEXT) | instid1(VALU_DEP_2)
	v_add_nc_u32_e32 v7, v7, v9
	v_mul_hi_u32 v9, v0, v8
	s_delay_alu instid0(VALU_DEP_2)
	v_mul_lo_u32 v10, v0, v7
	v_mul_hi_u32 v11, v0, v7
	v_mul_hi_u32 v12, v6, v8
	v_mul_lo_u32 v8, v6, v8
	v_mul_hi_u32 v13, v6, v7
	v_mul_lo_u32 v7, v6, v7
	v_add_co_u32 v9, vcc_lo, v9, v10
	v_add_co_ci_u32_e32 v10, vcc_lo, 0, v11, vcc_lo
	s_delay_alu instid0(VALU_DEP_2) | instskip(NEXT) | instid1(VALU_DEP_2)
	v_add_co_u32 v8, vcc_lo, v9, v8
	v_add_co_ci_u32_e32 v8, vcc_lo, v10, v12, vcc_lo
	v_add_co_ci_u32_e32 v9, vcc_lo, 0, v13, vcc_lo
	v_mov_b32_e32 v12, v2
	s_delay_alu instid0(VALU_DEP_3) | instskip(NEXT) | instid1(VALU_DEP_3)
	v_add_co_u32 v7, vcc_lo, v8, v7
	v_add_co_ci_u32_e32 v8, vcc_lo, 0, v9, vcc_lo
	v_mov_b32_e32 v13, v2
	s_delay_alu instid0(VALU_DEP_3) | instskip(NEXT) | instid1(VALU_DEP_3)
	v_add_co_u32 v0, vcc_lo, v0, v7
	v_add_co_ci_u32_e32 v6, vcc_lo, v6, v8, vcc_lo
	s_delay_alu instid0(VALU_DEP_2) | instskip(SKIP_1) | instid1(VALU_DEP_3)
	v_mul_hi_u32 v7, s2, v0
	v_mul_lo_u32 v9, s5, v0
	v_mul_lo_u32 v8, s2, v6
	s_delay_alu instid0(VALU_DEP_1) | instskip(SKIP_1) | instid1(VALU_DEP_2)
	v_add_nc_u32_e32 v7, v7, v8
	v_mul_lo_u32 v8, s2, v0
	v_add_nc_u32_e32 v7, v7, v9
	s_delay_alu instid0(VALU_DEP_2) | instskip(NEXT) | instid1(VALU_DEP_2)
	v_mul_hi_u32 v9, v0, v8
	v_mul_lo_u32 v10, v0, v7
	v_mul_hi_u32 v11, v0, v7
	v_mul_hi_u32 v14, v6, v8
	v_mul_lo_u32 v8, v6, v8
	v_mul_hi_u32 v15, v6, v7
	v_mul_lo_u32 v7, v6, v7
	v_add_co_u32 v9, vcc_lo, v9, v10
	v_add_co_ci_u32_e32 v10, vcc_lo, 0, v11, vcc_lo
	s_delay_alu instid0(VALU_DEP_2) | instskip(NEXT) | instid1(VALU_DEP_2)
	v_add_co_u32 v8, vcc_lo, v9, v8
	v_add_co_ci_u32_e32 v8, vcc_lo, v10, v14, vcc_lo
	v_add_co_ci_u32_e32 v9, vcc_lo, 0, v15, vcc_lo
	v_add_co_u32 v10, vcc_lo, v1, v12
	v_add_co_ci_u32_e32 v11, vcc_lo, v2, v13, vcc_lo
	s_delay_alu instid0(VALU_DEP_4) | instskip(NEXT) | instid1(VALU_DEP_4)
	v_add_co_u32 v7, vcc_lo, v8, v7
	v_add_co_ci_u32_e32 v8, vcc_lo, 0, v9, vcc_lo
	s_delay_alu instid0(VALU_DEP_4) | instskip(NEXT) | instid1(VALU_DEP_3)
	v_xor_b32_e32 v14, v10, v12
	v_add_co_u32 v0, vcc_lo, v0, v7
	s_delay_alu instid0(VALU_DEP_3) | instskip(SKIP_1) | instid1(VALU_DEP_3)
	v_add_co_ci_u32_e32 v15, vcc_lo, v6, v8, vcc_lo
	v_xor_b32_e32 v13, v11, v13
	v_mul_hi_u32 v16, v14, v0
	s_delay_alu instid0(VALU_DEP_3) | instskip(NEXT) | instid1(VALU_DEP_3)
	v_mad_u64_u32 v[6:7], null, v14, v15, 0
	v_mad_u64_u32 v[8:9], null, v13, v0, 0
	;; [unrolled: 1-line block ×3, first 2 shown]
	s_delay_alu instid0(VALU_DEP_3) | instskip(NEXT) | instid1(VALU_DEP_4)
	v_add_co_u32 v0, vcc_lo, v16, v6
	v_add_co_ci_u32_e32 v6, vcc_lo, 0, v7, vcc_lo
	s_delay_alu instid0(VALU_DEP_2) | instskip(NEXT) | instid1(VALU_DEP_2)
	v_add_co_u32 v0, vcc_lo, v0, v8
	v_add_co_ci_u32_e32 v0, vcc_lo, v6, v9, vcc_lo
	v_add_co_ci_u32_e32 v6, vcc_lo, 0, v11, vcc_lo
	s_delay_alu instid0(VALU_DEP_2) | instskip(NEXT) | instid1(VALU_DEP_2)
	v_add_co_u32 v0, vcc_lo, v0, v10
	v_add_co_ci_u32_e32 v8, vcc_lo, 0, v6, vcc_lo
	s_delay_alu instid0(VALU_DEP_2) | instskip(SKIP_1) | instid1(VALU_DEP_3)
	v_mul_lo_u32 v9, s7, v0
	v_mad_u64_u32 v[6:7], null, s6, v0, 0
	v_mul_lo_u32 v8, s6, v8
	s_delay_alu instid0(VALU_DEP_2) | instskip(NEXT) | instid1(VALU_DEP_2)
	v_sub_co_u32 v6, vcc_lo, v14, v6
	v_add3_u32 v7, v7, v8, v9
	v_add_co_u32 v9, s2, v0, 2
	s_delay_alu instid0(VALU_DEP_2) | instskip(NEXT) | instid1(VALU_DEP_1)
	v_sub_nc_u32_e32 v8, v13, v7
	v_subrev_co_ci_u32_e64 v8, s2, s7, v8, vcc_lo
	v_sub_co_u32 v10, s2, v6, s6
	v_sub_co_ci_u32_e32 v7, vcc_lo, v13, v7, vcc_lo
	s_delay_alu instid0(VALU_DEP_3) | instskip(NEXT) | instid1(VALU_DEP_3)
	v_subrev_co_ci_u32_e64 v8, s2, 0, v8, s2
	v_cmp_le_u32_e32 vcc_lo, s6, v10
	v_cndmask_b32_e64 v10, 0, -1, vcc_lo
	s_delay_alu instid0(VALU_DEP_3)
	v_cmp_le_u32_e32 vcc_lo, s7, v8
	v_cndmask_b32_e64 v11, 0, -1, vcc_lo
	v_cmp_le_u32_e32 vcc_lo, s6, v6
	v_cndmask_b32_e64 v6, 0, -1, vcc_lo
	;; [unrolled: 2-line block ×3, first 2 shown]
	v_cmp_eq_u32_e32 vcc_lo, s7, v8
	v_cndmask_b32_e32 v8, v11, v10, vcc_lo
	v_add_co_u32 v10, vcc_lo, v0, 1
	v_cmp_eq_u32_e32 vcc_lo, s7, v7
	v_cndmask_b32_e32 v6, v13, v6, vcc_lo
	s_delay_alu instid0(VALU_DEP_4) | instskip(NEXT) | instid1(VALU_DEP_4)
	v_cmp_ne_u32_e32 vcc_lo, 0, v8
	v_cndmask_b32_e32 v7, v10, v9, vcc_lo
	s_delay_alu instid0(VALU_DEP_3) | instskip(SKIP_1) | instid1(VALU_DEP_3)
	v_cmp_ne_u32_e32 vcc_lo, 0, v6
	v_xor_b32_e32 v6, s4, v12
	v_cndmask_b32_e32 v0, v0, v7, vcc_lo
	s_delay_alu instid0(VALU_DEP_1) | instskip(NEXT) | instid1(VALU_DEP_1)
	v_xor_b32_e32 v0, v0, v6
	v_sub_co_u32 v6, vcc_lo, v0, v6
.LBB8_11:
	s_and_not1_saveexec_b32 s2, s10
	s_cbranch_execz .LBB8_13
; %bb.12:
	v_cvt_f32_u32_e32 v0, s3
	s_sub_i32 s4, 0, s3
	s_delay_alu instid0(VALU_DEP_1) | instskip(SKIP_2) | instid1(VALU_DEP_1)
	v_rcp_iflag_f32_e32 v0, v0
	s_waitcnt_depctr 0xfff
	v_mul_f32_e32 v0, 0x4f7ffffe, v0
	v_cvt_u32_f32_e32 v0, v0
	s_delay_alu instid0(VALU_DEP_1) | instskip(NEXT) | instid1(VALU_DEP_1)
	v_mul_lo_u32 v6, s4, v0
	v_mul_hi_u32 v6, v0, v6
	s_delay_alu instid0(VALU_DEP_1) | instskip(NEXT) | instid1(VALU_DEP_1)
	v_add_nc_u32_e32 v0, v0, v6
	v_mul_hi_u32 v0, v1, v0
	s_delay_alu instid0(VALU_DEP_1) | instskip(SKIP_1) | instid1(VALU_DEP_2)
	v_mul_lo_u32 v6, v0, s3
	v_add_nc_u32_e32 v7, 1, v0
	v_sub_nc_u32_e32 v6, v1, v6
	s_delay_alu instid0(VALU_DEP_1) | instskip(SKIP_1) | instid1(VALU_DEP_2)
	v_subrev_nc_u32_e32 v8, s3, v6
	v_cmp_le_u32_e32 vcc_lo, s3, v6
	v_cndmask_b32_e32 v6, v6, v8, vcc_lo
	v_cndmask_b32_e32 v0, v0, v7, vcc_lo
	s_delay_alu instid0(VALU_DEP_2) | instskip(NEXT) | instid1(VALU_DEP_2)
	v_cmp_le_u32_e32 vcc_lo, s3, v6
	v_add_nc_u32_e32 v7, 1, v0
	s_delay_alu instid0(VALU_DEP_1)
	v_cndmask_b32_e32 v6, v0, v7, vcc_lo
.LBB8_13:
	s_or_b32 exec_lo, exec_lo, s2
	s_clause 0x3
	s_load_b32 s12, s[0:1], 0xc0
	s_load_b128 s[36:39], s[0:1], 0xb0
	s_load_b512 s[16:31], s[0:1], 0x18
	s_load_b64 s[2:3], s[0:1], 0xa8
	v_mul_lo_u32 v0, v4, s8
	v_mul_lo_u32 v4, v3, s9
	v_mad_u64_u32 v[7:8], null, v3, s8, 0
	s_load_b256 s[4:11], s[0:1], 0x88
	v_ashrrev_i32_e32 v10, 31, v5
	s_delay_alu instid0(VALU_DEP_2) | instskip(NEXT) | instid1(VALU_DEP_3)
	v_add3_u32 v0, v8, v4, v0
	v_sub_co_u32 v4, vcc_lo, v1, v7
	v_ashrrev_i32_e32 v1, 31, v6
	s_delay_alu instid0(VALU_DEP_3)
	v_sub_co_ci_u32_e32 v7, vcc_lo, v2, v0, vcc_lo
	s_waitcnt lgkmcnt(0)
	s_add_i32 s15, s15, s12
	s_sub_i32 s12, 0, s38
	s_sub_i32 s13, 0, s37
	s_max_i32 s21, s12, 0
	s_max_i32 s33, s13, 0
	s_load_b64 s[12:13], s[0:1], 0x58
	s_add_i32 s20, s38, s20
	s_max_i32 s19, s38, 0
	s_add_i32 s20, s20, -1
	s_sub_i32 s19, s21, s19
	v_maxmin_i32 v0, s38, v4, s20
	s_ashr_i32 s20, s15, 31
	s_mul_hi_u32 s38, s4, s15
	s_mul_i32 s21, s4, s20
	s_mul_i32 s5, s5, s15
	s_add_i32 s21, s38, s21
	v_add_nc_u32_e32 v8, s19, v0
	v_mul_lo_u32 v2, s9, v6
	v_mul_lo_u32 v3, s8, v1
	v_mad_u64_u32 v[0:1], null, s8, v6, 0
	s_sub_i32 s17, 0, s36
	s_add_i32 s5, s21, s5
	s_mul_i32 s4, s4, s15
	s_max_i32 s17, s17, 0
	s_max_i32 s34, s37, 0
	;; [unrolled: 1-line block ×3, first 2 shown]
	s_add_i32 s18, s37, s18
	s_add_i32 s16, s36, s16
	s_lshl_b64 s[4:5], s[4:5], 4
	s_add_i32 s14, s14, s39
	s_add_i32 s18, s18, -1
	s_sub_i32 s33, s33, s34
	s_add_i32 s16, s16, -1
	s_sub_i32 s17, s17, s35
	s_waitcnt lgkmcnt(0)
	s_add_u32 s12, s12, s4
	s_addc_u32 s13, s13, s5
	s_ashr_i32 s21, s14, 31
	v_add3_u32 v1, v1, v3, v2
	v_mul_lo_u32 v11, s11, v5
	v_mul_lo_u32 v10, s10, v10
	v_mad_u64_u32 v[2:3], null, s10, v5, 0
	s_mul_i32 s4, s6, s21
	s_mul_hi_u32 s5, s6, s14
	v_lshlrev_b64 v[0:1], 4, v[0:1]
	s_add_i32 s4, s5, s4
	s_mul_i32 s5, s7, s14
	v_maxmin_i32 v6, s36, v6, s16
	s_add_i32 s5, s4, s5
	s_mul_i32 s4, s6, s14
	v_add3_u32 v3, v3, v10, v11
	s_lshl_b64 s[4:5], s[4:5], 4
	v_maxmin_i32 v9, s37, v5, s18
	s_add_u32 s4, s12, s4
	v_add_nc_u32_e32 v5, s17, v6
	s_addc_u32 s5, s13, s5
	v_add_co_u32 v6, vcc_lo, s4, v0
	s_load_b64 s[0:1], s[0:1], 0x0
	v_add_co_ci_u32_e32 v10, vcc_lo, s5, v1, vcc_lo
	v_lshlrev_b64 v[0:1], 4, v[2:3]
	v_mul_lo_u32 v11, s3, v4
	v_mul_lo_u32 v7, s2, v7
	v_mad_u64_u32 v[2:3], null, s2, v4, 0
	v_add_nc_u32_e32 v9, s33, v9
	v_add_co_u32 v12, vcc_lo, v6, v0
	v_ashrrev_i32_e32 v0, 31, v5
	s_mul_i32 s3, s22, s20
	s_mul_hi_u32 s4, s22, s15
	v_add_co_ci_u32_e32 v10, vcc_lo, v10, v1, vcc_lo
	v_add3_u32 v3, v3, v7, v11
	v_mul_lo_u32 v6, s26, v0
	v_mul_lo_u32 v7, s27, v5
	v_ashrrev_i32_e32 v4, 31, v9
	v_mad_u64_u32 v[0:1], null, s26, v5, 0
	s_add_i32 s2, s4, s3
	s_mul_i32 s3, s23, s15
	s_delay_alu instid0(VALU_DEP_2)
	v_mul_lo_u32 v11, s28, v4
	s_add_i32 s3, s2, s3
	s_mul_i32 s2, s22, s15
	v_mul_lo_u32 v13, s29, v9
	v_mad_u64_u32 v[4:5], null, s28, v9, 0
	s_lshl_b64 s[2:3], s[2:3], 4
	v_add3_u32 v1, v1, v6, v7
	s_waitcnt lgkmcnt(0)
	s_add_u32 s2, s0, s2
	v_ashrrev_i32_e32 v6, 31, v8
	s_addc_u32 s3, s1, s3
	s_mul_i32 s0, s24, s21
	s_mul_hi_u32 s1, s24, s14
	v_lshlrev_b64 v[0:1], 4, v[0:1]
	s_add_i32 s0, s1, s0
	s_mul_i32 s1, s25, s14
	v_add3_u32 v5, v5, v11, v13
	s_add_i32 s1, s0, s1
	s_mul_i32 s0, s24, s14
	v_mul_lo_u32 v9, s30, v6
	v_mul_lo_u32 v11, s31, v8
	v_mad_u64_u32 v[6:7], null, s30, v8, 0
	s_lshl_b64 s[0:1], s[0:1], 4
	v_lshlrev_b64 v[4:5], 4, v[4:5]
	s_add_u32 s0, s2, s0
	s_addc_u32 s1, s3, s1
	v_add_co_u32 v0, vcc_lo, s0, v0
	v_add_co_ci_u32_e32 v1, vcc_lo, s1, v1, vcc_lo
	s_delay_alu instid0(VALU_DEP_4) | instskip(SKIP_1) | instid1(VALU_DEP_4)
	v_add3_u32 v7, v7, v9, v11
	v_lshlrev_b64 v[2:3], 4, v[2:3]
	v_add_co_u32 v4, vcc_lo, v0, v4
	s_delay_alu instid0(VALU_DEP_4) | instskip(NEXT) | instid1(VALU_DEP_4)
	v_add_co_ci_u32_e32 v5, vcc_lo, v1, v5, vcc_lo
	v_lshlrev_b64 v[0:1], 4, v[6:7]
	s_delay_alu instid0(VALU_DEP_4) | instskip(SKIP_2) | instid1(VALU_DEP_3)
	v_add_co_u32 v2, vcc_lo, v12, v2
	v_add_co_ci_u32_e32 v3, vcc_lo, v10, v3, vcc_lo
	s_mov_b32 s0, 0
	v_add_co_u32 v8, vcc_lo, v4, v0
	s_delay_alu instid0(VALU_DEP_4)
	v_add_co_ci_u32_e32 v9, vcc_lo, v5, v1, vcc_lo
	global_load_b128 v[0:3], v[2:3], off
	global_load_b64 v[6:7], v[8:9], off
.LBB8_14:                               ; =>This Inner Loop Header: Depth=1
	s_waitcnt vmcnt(0)
	v_add_f64 v[4:5], v[6:7], v[0:1]
	global_atomic_cmpswap_b64 v[4:5], v[8:9], v[4:7], off glc
	s_waitcnt vmcnt(0)
	v_cmp_eq_u64_e32 vcc_lo, v[4:5], v[6:7]
	v_dual_mov_b32 v7, v5 :: v_dual_mov_b32 v6, v4
	s_or_b32 s0, vcc_lo, s0
	s_delay_alu instid0(SALU_CYCLE_1)
	s_and_not1_b32 exec_lo, exec_lo, s0
	s_cbranch_execnz .LBB8_14
; %bb.15:
	s_or_b32 exec_lo, exec_lo, s0
	global_load_b64 v[6:7], v[8:9], off offset:8
	s_mov_b32 s0, 0
.LBB8_16:                               ; =>This Inner Loop Header: Depth=1
	s_waitcnt vmcnt(0)
	v_add_f64 v[4:5], v[6:7], v[2:3]
	global_atomic_cmpswap_b64 v[0:1], v[8:9], v[4:7], off offset:8 glc
	s_waitcnt vmcnt(0)
	v_cmp_eq_u64_e32 vcc_lo, v[0:1], v[6:7]
	v_dual_mov_b32 v7, v1 :: v_dual_mov_b32 v6, v0
	s_or_b32 s0, vcc_lo, s0
	s_delay_alu instid0(SALU_CYCLE_1)
	s_and_not1_b32 exec_lo, exec_lo, s0
	s_cbranch_execnz .LBB8_16
.LBB8_17:
	s_endpgm
	.section	.rodata,"a",@progbits
	.p2align	6, 0x0
	.amdhsa_kernel _ZN2at6native12_GLOBAL__N_131replication_pad_backward_kernelIN3c107complexIdEEEEvN5torch10headeronly6detail27GenericPackedTensorAccessorINS8_14TensorAccessorINS3_8ArrayRefIlEET_Lm4ENS7_16DefaultPtrTraitsElEENS_6detail16IndexBoundsCheckILm5ElEESD_Lm5ESE_lEENS9_INSA_ISC_KSD_Lm4ESE_lEESI_SK_Lm5ESE_lEEiiiii
		.amdhsa_group_segment_fixed_size 0
		.amdhsa_private_segment_fixed_size 0
		.amdhsa_kernarg_size 456
		.amdhsa_user_sgpr_count 13
		.amdhsa_user_sgpr_dispatch_ptr 0
		.amdhsa_user_sgpr_queue_ptr 0
		.amdhsa_user_sgpr_kernarg_segment_ptr 1
		.amdhsa_user_sgpr_dispatch_id 0
		.amdhsa_user_sgpr_private_segment_size 0
		.amdhsa_wavefront_size32 1
		.amdhsa_uses_dynamic_stack 0
		.amdhsa_enable_private_segment 0
		.amdhsa_system_sgpr_workgroup_id_x 1
		.amdhsa_system_sgpr_workgroup_id_y 1
		.amdhsa_system_sgpr_workgroup_id_z 1
		.amdhsa_system_sgpr_workgroup_info 0
		.amdhsa_system_vgpr_workitem_id 0
		.amdhsa_next_free_vgpr 17
		.amdhsa_next_free_sgpr 40
		.amdhsa_reserve_vcc 1
		.amdhsa_float_round_mode_32 0
		.amdhsa_float_round_mode_16_64 0
		.amdhsa_float_denorm_mode_32 3
		.amdhsa_float_denorm_mode_16_64 3
		.amdhsa_dx10_clamp 1
		.amdhsa_ieee_mode 1
		.amdhsa_fp16_overflow 0
		.amdhsa_workgroup_processor_mode 1
		.amdhsa_memory_ordered 1
		.amdhsa_forward_progress 0
		.amdhsa_shared_vgpr_count 0
		.amdhsa_exception_fp_ieee_invalid_op 0
		.amdhsa_exception_fp_denorm_src 0
		.amdhsa_exception_fp_ieee_div_zero 0
		.amdhsa_exception_fp_ieee_overflow 0
		.amdhsa_exception_fp_ieee_underflow 0
		.amdhsa_exception_fp_ieee_inexact 0
		.amdhsa_exception_int_div_zero 0
	.end_amdhsa_kernel
	.section	.text._ZN2at6native12_GLOBAL__N_131replication_pad_backward_kernelIN3c107complexIdEEEEvN5torch10headeronly6detail27GenericPackedTensorAccessorINS8_14TensorAccessorINS3_8ArrayRefIlEET_Lm4ENS7_16DefaultPtrTraitsElEENS_6detail16IndexBoundsCheckILm5ElEESD_Lm5ESE_lEENS9_INSA_ISC_KSD_Lm4ESE_lEESI_SK_Lm5ESE_lEEiiiii,"axG",@progbits,_ZN2at6native12_GLOBAL__N_131replication_pad_backward_kernelIN3c107complexIdEEEEvN5torch10headeronly6detail27GenericPackedTensorAccessorINS8_14TensorAccessorINS3_8ArrayRefIlEET_Lm4ENS7_16DefaultPtrTraitsElEENS_6detail16IndexBoundsCheckILm5ElEESD_Lm5ESE_lEENS9_INSA_ISC_KSD_Lm4ESE_lEESI_SK_Lm5ESE_lEEiiiii,comdat
.Lfunc_end8:
	.size	_ZN2at6native12_GLOBAL__N_131replication_pad_backward_kernelIN3c107complexIdEEEEvN5torch10headeronly6detail27GenericPackedTensorAccessorINS8_14TensorAccessorINS3_8ArrayRefIlEET_Lm4ENS7_16DefaultPtrTraitsElEENS_6detail16IndexBoundsCheckILm5ElEESD_Lm5ESE_lEENS9_INSA_ISC_KSD_Lm4ESE_lEESI_SK_Lm5ESE_lEEiiiii, .Lfunc_end8-_ZN2at6native12_GLOBAL__N_131replication_pad_backward_kernelIN3c107complexIdEEEEvN5torch10headeronly6detail27GenericPackedTensorAccessorINS8_14TensorAccessorINS3_8ArrayRefIlEET_Lm4ENS7_16DefaultPtrTraitsElEENS_6detail16IndexBoundsCheckILm5ElEESD_Lm5ESE_lEENS9_INSA_ISC_KSD_Lm4ESE_lEESI_SK_Lm5ESE_lEEiiiii
                                        ; -- End function
	.section	.AMDGPU.csdata,"",@progbits
; Kernel info:
; codeLenInByte = 3896
; NumSgprs: 42
; NumVgprs: 17
; ScratchSize: 0
; MemoryBound: 0
; FloatMode: 240
; IeeeMode: 1
; LDSByteSize: 0 bytes/workgroup (compile time only)
; SGPRBlocks: 5
; VGPRBlocks: 2
; NumSGPRsForWavesPerEU: 42
; NumVGPRsForWavesPerEU: 17
; Occupancy: 16
; WaveLimiterHint : 1
; COMPUTE_PGM_RSRC2:SCRATCH_EN: 0
; COMPUTE_PGM_RSRC2:USER_SGPR: 13
; COMPUTE_PGM_RSRC2:TRAP_HANDLER: 0
; COMPUTE_PGM_RSRC2:TGID_X_EN: 1
; COMPUTE_PGM_RSRC2:TGID_Y_EN: 1
; COMPUTE_PGM_RSRC2:TGID_Z_EN: 1
; COMPUTE_PGM_RSRC2:TIDIG_COMP_CNT: 0
	.section	.text._ZN2at6native12_GLOBAL__N_131replication_pad_backward_kernelIN3c107complexIfEEEEvN5torch10headeronly6detail27GenericPackedTensorAccessorINS8_14TensorAccessorINS3_8ArrayRefIlEET_Lm4ENS7_16DefaultPtrTraitsElEENS_6detail16IndexBoundsCheckILm5ElEESD_Lm5ESE_lEENS9_INSA_ISC_KSD_Lm4ESE_lEESI_SK_Lm5ESE_lEEiiiii,"axG",@progbits,_ZN2at6native12_GLOBAL__N_131replication_pad_backward_kernelIN3c107complexIfEEEEvN5torch10headeronly6detail27GenericPackedTensorAccessorINS8_14TensorAccessorINS3_8ArrayRefIlEET_Lm4ENS7_16DefaultPtrTraitsElEENS_6detail16IndexBoundsCheckILm5ElEESD_Lm5ESE_lEENS9_INSA_ISC_KSD_Lm4ESE_lEESI_SK_Lm5ESE_lEEiiiii,comdat
	.globl	_ZN2at6native12_GLOBAL__N_131replication_pad_backward_kernelIN3c107complexIfEEEEvN5torch10headeronly6detail27GenericPackedTensorAccessorINS8_14TensorAccessorINS3_8ArrayRefIlEET_Lm4ENS7_16DefaultPtrTraitsElEENS_6detail16IndexBoundsCheckILm5ElEESD_Lm5ESE_lEENS9_INSA_ISC_KSD_Lm4ESE_lEESI_SK_Lm5ESE_lEEiiiii ; -- Begin function _ZN2at6native12_GLOBAL__N_131replication_pad_backward_kernelIN3c107complexIfEEEEvN5torch10headeronly6detail27GenericPackedTensorAccessorINS8_14TensorAccessorINS3_8ArrayRefIlEET_Lm4ENS7_16DefaultPtrTraitsElEENS_6detail16IndexBoundsCheckILm5ElEESD_Lm5ESE_lEENS9_INSA_ISC_KSD_Lm4ESE_lEESI_SK_Lm5ESE_lEEiiiii
	.p2align	8
	.type	_ZN2at6native12_GLOBAL__N_131replication_pad_backward_kernelIN3c107complexIfEEEEvN5torch10headeronly6detail27GenericPackedTensorAccessorINS8_14TensorAccessorINS3_8ArrayRefIlEET_Lm4ENS7_16DefaultPtrTraitsElEENS_6detail16IndexBoundsCheckILm5ElEESD_Lm5ESE_lEENS9_INSA_ISC_KSD_Lm4ESE_lEESI_SK_Lm5ESE_lEEiiiii,@function
_ZN2at6native12_GLOBAL__N_131replication_pad_backward_kernelIN3c107complexIfEEEEvN5torch10headeronly6detail27GenericPackedTensorAccessorINS8_14TensorAccessorINS3_8ArrayRefIlEET_Lm4ENS7_16DefaultPtrTraitsElEENS_6detail16IndexBoundsCheckILm5ElEESD_Lm5ESE_lEENS9_INSA_ISC_KSD_Lm4ESE_lEESI_SK_Lm5ESE_lEEiiiii: ; @_ZN2at6native12_GLOBAL__N_131replication_pad_backward_kernelIN3c107complexIfEEEEvN5torch10headeronly6detail27GenericPackedTensorAccessorINS8_14TensorAccessorINS3_8ArrayRefIlEET_Lm4ENS7_16DefaultPtrTraitsElEENS_6detail16IndexBoundsCheckILm5ElEESD_Lm5ESE_lEENS9_INSA_ISC_KSD_Lm4ESE_lEESI_SK_Lm5ESE_lEEiiiii
; %bb.0:
	s_clause 0x2
	s_load_b32 s2, s[0:1], 0xd4
	s_load_b128 s[4:7], s[0:1], 0x70
	s_load_b64 s[8:9], s[0:1], 0x80
	s_waitcnt lgkmcnt(0)
	s_and_b32 s2, s2, 0xffff
	s_delay_alu instid0(SALU_CYCLE_1)
	v_mad_u64_u32 v[1:2], null, s13, s2, v[0:1]
	s_mul_i32 s10, s8, s7
	s_mul_hi_u32 s11, s8, s6
	s_mul_i32 s2, s9, s6
	s_mul_i32 s3, s8, s6
	s_add_i32 s12, s11, s10
	s_mul_i32 s5, s3, s5
	s_mul_hi_u32 s10, s3, s4
	s_add_i32 s12, s12, s2
	v_ashrrev_i32_e32 v2, 31, v1
	s_add_i32 s2, s10, s5
	s_mul_i32 s5, s12, s4
	s_mul_i32 s4, s3, s4
	s_add_i32 s5, s2, s5
	s_mov_b32 s2, exec_lo
	v_cmpx_gt_i64_e64 s[4:5], v[1:2]
	s_cbranch_execz .LBB9_17
; %bb.1:
	v_or_b32_e32 v4, s9, v2
	v_mov_b32_e32 v3, 0
	s_delay_alu instid0(VALU_DEP_1) | instskip(SKIP_1) | instid1(SALU_CYCLE_1)
	v_cmp_ne_u64_e32 vcc_lo, 0, v[3:4]
                                        ; implicit-def: $vgpr3_vgpr4
	s_and_saveexec_b32 s2, vcc_lo
	s_xor_b32 s13, exec_lo, s2
	s_cbranch_execz .LBB9_3
; %bb.2:
	s_ashr_i32 s4, s9, 31
	s_delay_alu instid0(SALU_CYCLE_1) | instskip(SKIP_2) | instid1(SALU_CYCLE_1)
	s_add_u32 s10, s8, s4
	s_mov_b32 s5, s4
	s_addc_u32 s11, s9, s4
	s_xor_b64 s[10:11], s[10:11], s[4:5]
	s_delay_alu instid0(SALU_CYCLE_1) | instskip(SKIP_3) | instid1(VALU_DEP_1)
	v_cvt_f32_u32_e32 v0, s10
	v_cvt_f32_u32_e32 v3, s11
	s_sub_u32 s2, 0, s10
	s_subb_u32 s5, 0, s11
	v_fmamk_f32 v0, v3, 0x4f800000, v0
	s_delay_alu instid0(VALU_DEP_1) | instskip(SKIP_2) | instid1(VALU_DEP_1)
	v_rcp_f32_e32 v0, v0
	s_waitcnt_depctr 0xfff
	v_mul_f32_e32 v0, 0x5f7ffffc, v0
	v_mul_f32_e32 v3, 0x2f800000, v0
	s_delay_alu instid0(VALU_DEP_1) | instskip(NEXT) | instid1(VALU_DEP_1)
	v_trunc_f32_e32 v3, v3
	v_fmamk_f32 v0, v3, 0xcf800000, v0
	v_cvt_u32_f32_e32 v3, v3
	s_delay_alu instid0(VALU_DEP_2) | instskip(NEXT) | instid1(VALU_DEP_2)
	v_cvt_u32_f32_e32 v0, v0
	v_mul_lo_u32 v4, s2, v3
	s_delay_alu instid0(VALU_DEP_2) | instskip(SKIP_1) | instid1(VALU_DEP_2)
	v_mul_hi_u32 v5, s2, v0
	v_mul_lo_u32 v6, s5, v0
	v_add_nc_u32_e32 v4, v5, v4
	v_mul_lo_u32 v5, s2, v0
	s_delay_alu instid0(VALU_DEP_2) | instskip(NEXT) | instid1(VALU_DEP_2)
	v_add_nc_u32_e32 v4, v4, v6
	v_mul_hi_u32 v6, v0, v5
	s_delay_alu instid0(VALU_DEP_2)
	v_mul_lo_u32 v7, v0, v4
	v_mul_hi_u32 v8, v0, v4
	v_mul_hi_u32 v9, v3, v5
	v_mul_lo_u32 v5, v3, v5
	v_mul_hi_u32 v10, v3, v4
	v_mul_lo_u32 v4, v3, v4
	v_add_co_u32 v6, vcc_lo, v6, v7
	v_add_co_ci_u32_e32 v7, vcc_lo, 0, v8, vcc_lo
	s_delay_alu instid0(VALU_DEP_2) | instskip(NEXT) | instid1(VALU_DEP_2)
	v_add_co_u32 v5, vcc_lo, v6, v5
	v_add_co_ci_u32_e32 v5, vcc_lo, v7, v9, vcc_lo
	v_add_co_ci_u32_e32 v6, vcc_lo, 0, v10, vcc_lo
	v_ashrrev_i32_e32 v9, 31, v2
	s_delay_alu instid0(VALU_DEP_3) | instskip(NEXT) | instid1(VALU_DEP_3)
	v_add_co_u32 v4, vcc_lo, v5, v4
	v_add_co_ci_u32_e32 v5, vcc_lo, 0, v6, vcc_lo
	s_delay_alu instid0(VALU_DEP_2) | instskip(NEXT) | instid1(VALU_DEP_2)
	v_add_co_u32 v0, vcc_lo, v0, v4
	v_add_co_ci_u32_e32 v3, vcc_lo, v3, v5, vcc_lo
	s_delay_alu instid0(VALU_DEP_2) | instskip(SKIP_1) | instid1(VALU_DEP_3)
	v_mul_hi_u32 v4, s2, v0
	v_mul_lo_u32 v6, s5, v0
	v_mul_lo_u32 v5, s2, v3
	s_delay_alu instid0(VALU_DEP_1) | instskip(SKIP_1) | instid1(VALU_DEP_2)
	v_add_nc_u32_e32 v4, v4, v5
	v_mul_lo_u32 v5, s2, v0
	v_add_nc_u32_e32 v4, v4, v6
	s_delay_alu instid0(VALU_DEP_2) | instskip(NEXT) | instid1(VALU_DEP_2)
	v_mul_hi_u32 v6, v0, v5
	v_mul_lo_u32 v7, v0, v4
	v_mul_hi_u32 v8, v0, v4
	v_mul_hi_u32 v10, v3, v5
	v_mul_lo_u32 v5, v3, v5
	v_mul_hi_u32 v11, v3, v4
	v_mul_lo_u32 v4, v3, v4
	v_add_co_u32 v6, vcc_lo, v6, v7
	v_add_co_ci_u32_e32 v7, vcc_lo, 0, v8, vcc_lo
	s_delay_alu instid0(VALU_DEP_2) | instskip(NEXT) | instid1(VALU_DEP_2)
	v_add_co_u32 v5, vcc_lo, v6, v5
	v_add_co_ci_u32_e32 v5, vcc_lo, v7, v10, vcc_lo
	v_add_co_ci_u32_e32 v6, vcc_lo, 0, v11, vcc_lo
	v_add_co_u32 v7, vcc_lo, v1, v9
	v_add_co_ci_u32_e32 v8, vcc_lo, v2, v9, vcc_lo
	s_delay_alu instid0(VALU_DEP_4) | instskip(NEXT) | instid1(VALU_DEP_4)
	v_add_co_u32 v4, vcc_lo, v5, v4
	v_add_co_ci_u32_e32 v5, vcc_lo, 0, v6, vcc_lo
	s_delay_alu instid0(VALU_DEP_4) | instskip(NEXT) | instid1(VALU_DEP_3)
	v_xor_b32_e32 v10, v7, v9
	v_add_co_u32 v0, vcc_lo, v0, v4
	s_delay_alu instid0(VALU_DEP_3) | instskip(SKIP_1) | instid1(VALU_DEP_3)
	v_add_co_ci_u32_e32 v11, vcc_lo, v3, v5, vcc_lo
	v_xor_b32_e32 v12, v8, v9
	v_mul_hi_u32 v13, v10, v0
	s_delay_alu instid0(VALU_DEP_3) | instskip(NEXT) | instid1(VALU_DEP_3)
	v_mad_u64_u32 v[3:4], null, v10, v11, 0
	v_mad_u64_u32 v[5:6], null, v12, v0, 0
	;; [unrolled: 1-line block ×3, first 2 shown]
	s_delay_alu instid0(VALU_DEP_3) | instskip(NEXT) | instid1(VALU_DEP_4)
	v_add_co_u32 v0, vcc_lo, v13, v3
	v_add_co_ci_u32_e32 v3, vcc_lo, 0, v4, vcc_lo
	s_delay_alu instid0(VALU_DEP_2) | instskip(NEXT) | instid1(VALU_DEP_2)
	v_add_co_u32 v0, vcc_lo, v0, v5
	v_add_co_ci_u32_e32 v0, vcc_lo, v3, v6, vcc_lo
	v_add_co_ci_u32_e32 v3, vcc_lo, 0, v8, vcc_lo
	s_delay_alu instid0(VALU_DEP_2) | instskip(NEXT) | instid1(VALU_DEP_2)
	v_add_co_u32 v0, vcc_lo, v0, v7
	v_add_co_ci_u32_e32 v5, vcc_lo, 0, v3, vcc_lo
	s_delay_alu instid0(VALU_DEP_2) | instskip(SKIP_1) | instid1(VALU_DEP_3)
	v_mul_lo_u32 v6, s11, v0
	v_mad_u64_u32 v[3:4], null, s10, v0, 0
	v_mul_lo_u32 v7, s10, v5
	s_delay_alu instid0(VALU_DEP_2) | instskip(NEXT) | instid1(VALU_DEP_2)
	v_sub_co_u32 v3, vcc_lo, v10, v3
	v_add3_u32 v4, v4, v7, v6
	s_delay_alu instid0(VALU_DEP_1) | instskip(NEXT) | instid1(VALU_DEP_1)
	v_sub_nc_u32_e32 v6, v12, v4
	v_subrev_co_ci_u32_e64 v6, s2, s11, v6, vcc_lo
	v_add_co_u32 v7, s2, v0, 2
	s_delay_alu instid0(VALU_DEP_1) | instskip(SKIP_3) | instid1(VALU_DEP_3)
	v_add_co_ci_u32_e64 v8, s2, 0, v5, s2
	v_sub_co_u32 v10, s2, v3, s10
	v_sub_co_ci_u32_e32 v4, vcc_lo, v12, v4, vcc_lo
	v_subrev_co_ci_u32_e64 v6, s2, 0, v6, s2
	v_cmp_le_u32_e32 vcc_lo, s10, v10
	s_delay_alu instid0(VALU_DEP_3) | instskip(SKIP_1) | instid1(VALU_DEP_4)
	v_cmp_eq_u32_e64 s2, s11, v4
	v_cndmask_b32_e64 v10, 0, -1, vcc_lo
	v_cmp_le_u32_e32 vcc_lo, s11, v6
	v_cndmask_b32_e64 v11, 0, -1, vcc_lo
	v_cmp_le_u32_e32 vcc_lo, s10, v3
	;; [unrolled: 2-line block ×3, first 2 shown]
	v_cndmask_b32_e64 v12, 0, -1, vcc_lo
	v_cmp_eq_u32_e32 vcc_lo, s11, v6
	s_delay_alu instid0(VALU_DEP_2) | instskip(SKIP_3) | instid1(VALU_DEP_3)
	v_cndmask_b32_e64 v3, v12, v3, s2
	v_cndmask_b32_e32 v6, v11, v10, vcc_lo
	v_add_co_u32 v10, vcc_lo, v0, 1
	v_add_co_ci_u32_e32 v11, vcc_lo, 0, v5, vcc_lo
	v_cmp_ne_u32_e32 vcc_lo, 0, v6
	s_delay_alu instid0(VALU_DEP_2) | instskip(NEXT) | instid1(VALU_DEP_4)
	v_cndmask_b32_e32 v4, v11, v8, vcc_lo
	v_cndmask_b32_e32 v6, v10, v7, vcc_lo
	v_cmp_ne_u32_e32 vcc_lo, 0, v3
	v_xor_b32_e32 v7, s4, v9
	s_delay_alu instid0(VALU_DEP_3) | instskip(NEXT) | instid1(VALU_DEP_1)
	v_dual_cndmask_b32 v0, v0, v6 :: v_dual_cndmask_b32 v3, v5, v4
	v_xor_b32_e32 v0, v0, v7
	s_delay_alu instid0(VALU_DEP_2) | instskip(NEXT) | instid1(VALU_DEP_2)
	v_xor_b32_e32 v4, v3, v7
	v_sub_co_u32 v3, vcc_lo, v0, v7
	s_delay_alu instid0(VALU_DEP_2)
	v_sub_co_ci_u32_e32 v4, vcc_lo, v4, v7, vcc_lo
.LBB9_3:
	s_and_not1_saveexec_b32 s2, s13
	s_cbranch_execz .LBB9_5
; %bb.4:
	v_cvt_f32_u32_e32 v0, s8
	s_sub_i32 s4, 0, s8
	s_delay_alu instid0(VALU_DEP_1) | instskip(SKIP_2) | instid1(VALU_DEP_1)
	v_rcp_iflag_f32_e32 v0, v0
	s_waitcnt_depctr 0xfff
	v_mul_f32_e32 v0, 0x4f7ffffe, v0
	v_cvt_u32_f32_e32 v0, v0
	s_delay_alu instid0(VALU_DEP_1) | instskip(NEXT) | instid1(VALU_DEP_1)
	v_mul_lo_u32 v3, s4, v0
	v_mul_hi_u32 v3, v0, v3
	s_delay_alu instid0(VALU_DEP_1) | instskip(NEXT) | instid1(VALU_DEP_1)
	v_add_nc_u32_e32 v0, v0, v3
	v_mul_hi_u32 v0, v1, v0
	s_delay_alu instid0(VALU_DEP_1) | instskip(SKIP_1) | instid1(VALU_DEP_2)
	v_mul_lo_u32 v3, v0, s8
	v_add_nc_u32_e32 v4, 1, v0
	v_sub_nc_u32_e32 v3, v1, v3
	s_delay_alu instid0(VALU_DEP_1) | instskip(SKIP_1) | instid1(VALU_DEP_2)
	v_subrev_nc_u32_e32 v5, s8, v3
	v_cmp_le_u32_e32 vcc_lo, s8, v3
	v_dual_cndmask_b32 v3, v3, v5 :: v_dual_cndmask_b32 v0, v0, v4
	s_delay_alu instid0(VALU_DEP_1) | instskip(NEXT) | instid1(VALU_DEP_2)
	v_cmp_le_u32_e32 vcc_lo, s8, v3
	v_add_nc_u32_e32 v4, 1, v0
	s_delay_alu instid0(VALU_DEP_1)
	v_dual_cndmask_b32 v3, v0, v4 :: v_dual_mov_b32 v4, 0
.LBB9_5:
	s_or_b32 exec_lo, exec_lo, s2
	s_delay_alu instid0(VALU_DEP_1) | instskip(SKIP_1) | instid1(VALU_DEP_1)
	v_or_b32_e32 v6, s7, v4
	v_mov_b32_e32 v5, 0
	v_cmp_ne_u64_e32 vcc_lo, 0, v[5:6]
                                        ; implicit-def: $vgpr5_vgpr6
	s_and_saveexec_b32 s2, vcc_lo
	s_delay_alu instid0(SALU_CYCLE_1)
	s_xor_b32 s10, exec_lo, s2
	s_cbranch_execz .LBB9_7
; %bb.6:
	s_ashr_i32 s4, s7, 31
	s_delay_alu instid0(SALU_CYCLE_1) | instskip(SKIP_2) | instid1(SALU_CYCLE_1)
	s_add_u32 s16, s6, s4
	s_mov_b32 s5, s4
	s_addc_u32 s17, s7, s4
	s_xor_b64 s[4:5], s[16:17], s[4:5]
	s_delay_alu instid0(SALU_CYCLE_1) | instskip(SKIP_3) | instid1(VALU_DEP_1)
	v_cvt_f32_u32_e32 v0, s4
	v_cvt_f32_u32_e32 v5, s5
	s_sub_u32 s2, 0, s4
	s_subb_u32 s7, 0, s5
	v_fmamk_f32 v0, v5, 0x4f800000, v0
	s_delay_alu instid0(VALU_DEP_1) | instskip(SKIP_2) | instid1(VALU_DEP_1)
	v_rcp_f32_e32 v0, v0
	s_waitcnt_depctr 0xfff
	v_mul_f32_e32 v0, 0x5f7ffffc, v0
	v_mul_f32_e32 v5, 0x2f800000, v0
	s_delay_alu instid0(VALU_DEP_1) | instskip(NEXT) | instid1(VALU_DEP_1)
	v_trunc_f32_e32 v5, v5
	v_fmamk_f32 v0, v5, 0xcf800000, v0
	v_cvt_u32_f32_e32 v5, v5
	s_delay_alu instid0(VALU_DEP_2) | instskip(NEXT) | instid1(VALU_DEP_2)
	v_cvt_u32_f32_e32 v0, v0
	v_mul_lo_u32 v6, s2, v5
	s_delay_alu instid0(VALU_DEP_2) | instskip(SKIP_1) | instid1(VALU_DEP_2)
	v_mul_hi_u32 v7, s2, v0
	v_mul_lo_u32 v8, s7, v0
	v_add_nc_u32_e32 v6, v7, v6
	v_mul_lo_u32 v7, s2, v0
	s_delay_alu instid0(VALU_DEP_2) | instskip(NEXT) | instid1(VALU_DEP_2)
	v_add_nc_u32_e32 v6, v6, v8
	v_mul_hi_u32 v8, v0, v7
	s_delay_alu instid0(VALU_DEP_2)
	v_mul_lo_u32 v9, v0, v6
	v_mul_hi_u32 v10, v0, v6
	v_mul_hi_u32 v11, v5, v7
	v_mul_lo_u32 v7, v5, v7
	v_mul_hi_u32 v12, v5, v6
	v_mul_lo_u32 v6, v5, v6
	v_add_co_u32 v8, vcc_lo, v8, v9
	v_add_co_ci_u32_e32 v9, vcc_lo, 0, v10, vcc_lo
	s_delay_alu instid0(VALU_DEP_2) | instskip(NEXT) | instid1(VALU_DEP_2)
	v_add_co_u32 v7, vcc_lo, v8, v7
	v_add_co_ci_u32_e32 v7, vcc_lo, v9, v11, vcc_lo
	v_add_co_ci_u32_e32 v8, vcc_lo, 0, v12, vcc_lo
	v_ashrrev_i32_e32 v11, 31, v4
	s_delay_alu instid0(VALU_DEP_3) | instskip(NEXT) | instid1(VALU_DEP_3)
	v_add_co_u32 v6, vcc_lo, v7, v6
	v_add_co_ci_u32_e32 v7, vcc_lo, 0, v8, vcc_lo
	s_delay_alu instid0(VALU_DEP_2) | instskip(NEXT) | instid1(VALU_DEP_2)
	v_add_co_u32 v0, vcc_lo, v0, v6
	v_add_co_ci_u32_e32 v5, vcc_lo, v5, v7, vcc_lo
	s_delay_alu instid0(VALU_DEP_2) | instskip(SKIP_1) | instid1(VALU_DEP_3)
	v_mul_hi_u32 v6, s2, v0
	v_mul_lo_u32 v8, s7, v0
	v_mul_lo_u32 v7, s2, v5
	s_delay_alu instid0(VALU_DEP_1) | instskip(SKIP_1) | instid1(VALU_DEP_2)
	v_add_nc_u32_e32 v6, v6, v7
	v_mul_lo_u32 v7, s2, v0
	v_add_nc_u32_e32 v6, v6, v8
	s_delay_alu instid0(VALU_DEP_2) | instskip(NEXT) | instid1(VALU_DEP_2)
	v_mul_hi_u32 v8, v0, v7
	v_mul_lo_u32 v9, v0, v6
	v_mul_hi_u32 v10, v0, v6
	v_mul_hi_u32 v12, v5, v7
	v_mul_lo_u32 v7, v5, v7
	v_mul_hi_u32 v13, v5, v6
	v_mul_lo_u32 v6, v5, v6
	v_add_co_u32 v8, vcc_lo, v8, v9
	v_add_co_ci_u32_e32 v9, vcc_lo, 0, v10, vcc_lo
	s_delay_alu instid0(VALU_DEP_2) | instskip(NEXT) | instid1(VALU_DEP_2)
	v_add_co_u32 v7, vcc_lo, v8, v7
	v_add_co_ci_u32_e32 v7, vcc_lo, v9, v12, vcc_lo
	v_add_co_ci_u32_e32 v8, vcc_lo, 0, v13, vcc_lo
	v_add_co_u32 v9, vcc_lo, v3, v11
	v_add_co_ci_u32_e32 v10, vcc_lo, v4, v11, vcc_lo
	s_delay_alu instid0(VALU_DEP_4) | instskip(NEXT) | instid1(VALU_DEP_4)
	v_add_co_u32 v6, vcc_lo, v7, v6
	v_add_co_ci_u32_e32 v7, vcc_lo, 0, v8, vcc_lo
	s_delay_alu instid0(VALU_DEP_4) | instskip(NEXT) | instid1(VALU_DEP_3)
	v_xor_b32_e32 v12, v9, v11
	v_add_co_u32 v0, vcc_lo, v0, v6
	s_delay_alu instid0(VALU_DEP_3) | instskip(SKIP_1) | instid1(VALU_DEP_3)
	v_add_co_ci_u32_e32 v13, vcc_lo, v5, v7, vcc_lo
	v_xor_b32_e32 v14, v10, v11
	v_mul_hi_u32 v15, v12, v0
	s_delay_alu instid0(VALU_DEP_3) | instskip(NEXT) | instid1(VALU_DEP_3)
	v_mad_u64_u32 v[5:6], null, v12, v13, 0
	v_mad_u64_u32 v[7:8], null, v14, v0, 0
	;; [unrolled: 1-line block ×3, first 2 shown]
	s_delay_alu instid0(VALU_DEP_3) | instskip(NEXT) | instid1(VALU_DEP_4)
	v_add_co_u32 v0, vcc_lo, v15, v5
	v_add_co_ci_u32_e32 v5, vcc_lo, 0, v6, vcc_lo
	s_delay_alu instid0(VALU_DEP_2) | instskip(NEXT) | instid1(VALU_DEP_2)
	v_add_co_u32 v0, vcc_lo, v0, v7
	v_add_co_ci_u32_e32 v0, vcc_lo, v5, v8, vcc_lo
	v_add_co_ci_u32_e32 v5, vcc_lo, 0, v10, vcc_lo
	s_delay_alu instid0(VALU_DEP_2) | instskip(NEXT) | instid1(VALU_DEP_2)
	v_add_co_u32 v0, vcc_lo, v0, v9
	v_add_co_ci_u32_e32 v7, vcc_lo, 0, v5, vcc_lo
	s_delay_alu instid0(VALU_DEP_2) | instskip(SKIP_1) | instid1(VALU_DEP_3)
	v_mul_lo_u32 v8, s5, v0
	v_mad_u64_u32 v[5:6], null, s4, v0, 0
	v_mul_lo_u32 v0, s4, v7
	s_delay_alu instid0(VALU_DEP_2) | instskip(NEXT) | instid1(VALU_DEP_2)
	v_sub_co_u32 v5, vcc_lo, v12, v5
	v_add3_u32 v0, v6, v0, v8
	s_delay_alu instid0(VALU_DEP_1) | instskip(NEXT) | instid1(VALU_DEP_1)
	v_sub_nc_u32_e32 v6, v14, v0
	v_subrev_co_ci_u32_e64 v6, s2, s5, v6, vcc_lo
	s_delay_alu instid0(VALU_DEP_4) | instskip(SKIP_1) | instid1(VALU_DEP_3)
	v_sub_co_u32 v7, s2, v5, s4
	v_sub_co_ci_u32_e32 v0, vcc_lo, v14, v0, vcc_lo
	v_subrev_co_ci_u32_e64 v6, s2, 0, v6, s2
	s_delay_alu instid0(VALU_DEP_3) | instskip(SKIP_1) | instid1(VALU_DEP_3)
	v_cmp_le_u32_e32 vcc_lo, s4, v7
	v_cndmask_b32_e64 v8, 0, -1, vcc_lo
	v_cmp_le_u32_e32 vcc_lo, s5, v6
	v_cndmask_b32_e64 v9, 0, -1, vcc_lo
	;; [unrolled: 2-line block ×4, first 2 shown]
	v_cmp_eq_u32_e32 vcc_lo, s5, v6
	v_cndmask_b32_e32 v6, v9, v8, vcc_lo
	v_sub_co_u32 v8, vcc_lo, v7, s4
	v_cmp_eq_u32_e32 vcc_lo, s5, v0
	v_cndmask_b32_e32 v0, v12, v10, vcc_lo
	s_delay_alu instid0(VALU_DEP_4) | instskip(NEXT) | instid1(VALU_DEP_4)
	v_cmp_ne_u32_e32 vcc_lo, 0, v6
	v_cndmask_b32_e32 v6, v7, v8, vcc_lo
	s_delay_alu instid0(VALU_DEP_3) | instskip(NEXT) | instid1(VALU_DEP_2)
	v_cmp_ne_u32_e32 vcc_lo, 0, v0
	v_cndmask_b32_e32 v0, v5, v6, vcc_lo
	s_delay_alu instid0(VALU_DEP_1) | instskip(NEXT) | instid1(VALU_DEP_1)
	v_xor_b32_e32 v0, v0, v11
	v_sub_co_u32 v5, vcc_lo, v0, v11
.LBB9_7:
	s_and_not1_saveexec_b32 s2, s10
	s_cbranch_execz .LBB9_9
; %bb.8:
	v_cvt_f32_u32_e32 v0, s6
	s_sub_i32 s4, 0, s6
	s_delay_alu instid0(VALU_DEP_1) | instskip(SKIP_2) | instid1(VALU_DEP_1)
	v_rcp_iflag_f32_e32 v0, v0
	s_waitcnt_depctr 0xfff
	v_mul_f32_e32 v0, 0x4f7ffffe, v0
	v_cvt_u32_f32_e32 v0, v0
	s_delay_alu instid0(VALU_DEP_1) | instskip(NEXT) | instid1(VALU_DEP_1)
	v_mul_lo_u32 v5, s4, v0
	v_mul_hi_u32 v5, v0, v5
	s_delay_alu instid0(VALU_DEP_1) | instskip(NEXT) | instid1(VALU_DEP_1)
	v_add_nc_u32_e32 v0, v0, v5
	v_mul_hi_u32 v0, v3, v0
	s_delay_alu instid0(VALU_DEP_1) | instskip(NEXT) | instid1(VALU_DEP_1)
	v_mul_lo_u32 v0, v0, s6
	v_sub_nc_u32_e32 v0, v3, v0
	s_delay_alu instid0(VALU_DEP_1) | instskip(SKIP_1) | instid1(VALU_DEP_2)
	v_subrev_nc_u32_e32 v5, s6, v0
	v_cmp_le_u32_e32 vcc_lo, s6, v0
	v_cndmask_b32_e32 v0, v0, v5, vcc_lo
	s_delay_alu instid0(VALU_DEP_1) | instskip(SKIP_1) | instid1(VALU_DEP_2)
	v_subrev_nc_u32_e32 v5, s6, v0
	v_cmp_le_u32_e32 vcc_lo, s6, v0
	v_cndmask_b32_e32 v5, v0, v5, vcc_lo
.LBB9_9:
	s_or_b32 exec_lo, exec_lo, s2
	v_or_b32_e32 v7, s12, v2
	v_mov_b32_e32 v6, 0
	s_delay_alu instid0(VALU_DEP_1) | instskip(SKIP_1) | instid1(SALU_CYCLE_1)
	v_cmp_ne_u64_e32 vcc_lo, 0, v[6:7]
                                        ; implicit-def: $vgpr6_vgpr7
	s_and_saveexec_b32 s2, vcc_lo
	s_xor_b32 s10, exec_lo, s2
	s_cbranch_execz .LBB9_11
; %bb.10:
	s_ashr_i32 s4, s12, 31
	s_delay_alu instid0(SALU_CYCLE_1) | instskip(SKIP_2) | instid1(SALU_CYCLE_1)
	s_add_u32 s6, s3, s4
	s_mov_b32 s5, s4
	s_addc_u32 s7, s12, s4
	s_xor_b64 s[6:7], s[6:7], s[4:5]
	s_delay_alu instid0(SALU_CYCLE_1) | instskip(SKIP_3) | instid1(VALU_DEP_1)
	v_cvt_f32_u32_e32 v0, s6
	v_cvt_f32_u32_e32 v6, s7
	s_sub_u32 s2, 0, s6
	s_subb_u32 s5, 0, s7
	v_fmamk_f32 v0, v6, 0x4f800000, v0
	s_delay_alu instid0(VALU_DEP_1) | instskip(SKIP_2) | instid1(VALU_DEP_1)
	v_rcp_f32_e32 v0, v0
	s_waitcnt_depctr 0xfff
	v_mul_f32_e32 v0, 0x5f7ffffc, v0
	v_mul_f32_e32 v6, 0x2f800000, v0
	s_delay_alu instid0(VALU_DEP_1) | instskip(NEXT) | instid1(VALU_DEP_1)
	v_trunc_f32_e32 v6, v6
	v_fmamk_f32 v0, v6, 0xcf800000, v0
	v_cvt_u32_f32_e32 v6, v6
	s_delay_alu instid0(VALU_DEP_2) | instskip(NEXT) | instid1(VALU_DEP_2)
	v_cvt_u32_f32_e32 v0, v0
	v_mul_lo_u32 v7, s2, v6
	s_delay_alu instid0(VALU_DEP_2) | instskip(SKIP_1) | instid1(VALU_DEP_2)
	v_mul_hi_u32 v8, s2, v0
	v_mul_lo_u32 v9, s5, v0
	v_add_nc_u32_e32 v7, v8, v7
	v_mul_lo_u32 v8, s2, v0
	s_delay_alu instid0(VALU_DEP_2) | instskip(NEXT) | instid1(VALU_DEP_2)
	v_add_nc_u32_e32 v7, v7, v9
	v_mul_hi_u32 v9, v0, v8
	s_delay_alu instid0(VALU_DEP_2)
	v_mul_lo_u32 v10, v0, v7
	v_mul_hi_u32 v11, v0, v7
	v_mul_hi_u32 v12, v6, v8
	v_mul_lo_u32 v8, v6, v8
	v_mul_hi_u32 v13, v6, v7
	v_mul_lo_u32 v7, v6, v7
	v_add_co_u32 v9, vcc_lo, v9, v10
	v_add_co_ci_u32_e32 v10, vcc_lo, 0, v11, vcc_lo
	s_delay_alu instid0(VALU_DEP_2) | instskip(NEXT) | instid1(VALU_DEP_2)
	v_add_co_u32 v8, vcc_lo, v9, v8
	v_add_co_ci_u32_e32 v8, vcc_lo, v10, v12, vcc_lo
	v_add_co_ci_u32_e32 v9, vcc_lo, 0, v13, vcc_lo
	v_mov_b32_e32 v12, v2
	s_delay_alu instid0(VALU_DEP_3) | instskip(NEXT) | instid1(VALU_DEP_3)
	v_add_co_u32 v7, vcc_lo, v8, v7
	v_add_co_ci_u32_e32 v8, vcc_lo, 0, v9, vcc_lo
	v_mov_b32_e32 v13, v2
	s_delay_alu instid0(VALU_DEP_3) | instskip(NEXT) | instid1(VALU_DEP_3)
	v_add_co_u32 v0, vcc_lo, v0, v7
	v_add_co_ci_u32_e32 v6, vcc_lo, v6, v8, vcc_lo
	s_delay_alu instid0(VALU_DEP_2) | instskip(SKIP_1) | instid1(VALU_DEP_3)
	v_mul_hi_u32 v7, s2, v0
	v_mul_lo_u32 v9, s5, v0
	v_mul_lo_u32 v8, s2, v6
	s_delay_alu instid0(VALU_DEP_1) | instskip(SKIP_1) | instid1(VALU_DEP_2)
	v_add_nc_u32_e32 v7, v7, v8
	v_mul_lo_u32 v8, s2, v0
	v_add_nc_u32_e32 v7, v7, v9
	s_delay_alu instid0(VALU_DEP_2) | instskip(NEXT) | instid1(VALU_DEP_2)
	v_mul_hi_u32 v9, v0, v8
	v_mul_lo_u32 v10, v0, v7
	v_mul_hi_u32 v11, v0, v7
	v_mul_hi_u32 v14, v6, v8
	v_mul_lo_u32 v8, v6, v8
	v_mul_hi_u32 v15, v6, v7
	v_mul_lo_u32 v7, v6, v7
	v_add_co_u32 v9, vcc_lo, v9, v10
	v_add_co_ci_u32_e32 v10, vcc_lo, 0, v11, vcc_lo
	s_delay_alu instid0(VALU_DEP_2) | instskip(NEXT) | instid1(VALU_DEP_2)
	v_add_co_u32 v8, vcc_lo, v9, v8
	v_add_co_ci_u32_e32 v8, vcc_lo, v10, v14, vcc_lo
	v_add_co_ci_u32_e32 v9, vcc_lo, 0, v15, vcc_lo
	v_add_co_u32 v10, vcc_lo, v1, v12
	v_add_co_ci_u32_e32 v11, vcc_lo, v2, v13, vcc_lo
	s_delay_alu instid0(VALU_DEP_4) | instskip(NEXT) | instid1(VALU_DEP_4)
	v_add_co_u32 v7, vcc_lo, v8, v7
	v_add_co_ci_u32_e32 v8, vcc_lo, 0, v9, vcc_lo
	s_delay_alu instid0(VALU_DEP_4) | instskip(NEXT) | instid1(VALU_DEP_3)
	v_xor_b32_e32 v14, v10, v12
	v_add_co_u32 v0, vcc_lo, v0, v7
	s_delay_alu instid0(VALU_DEP_3) | instskip(SKIP_1) | instid1(VALU_DEP_3)
	v_add_co_ci_u32_e32 v15, vcc_lo, v6, v8, vcc_lo
	v_xor_b32_e32 v13, v11, v13
	v_mul_hi_u32 v16, v14, v0
	s_delay_alu instid0(VALU_DEP_3) | instskip(NEXT) | instid1(VALU_DEP_3)
	v_mad_u64_u32 v[6:7], null, v14, v15, 0
	v_mad_u64_u32 v[8:9], null, v13, v0, 0
	;; [unrolled: 1-line block ×3, first 2 shown]
	s_delay_alu instid0(VALU_DEP_3) | instskip(NEXT) | instid1(VALU_DEP_4)
	v_add_co_u32 v0, vcc_lo, v16, v6
	v_add_co_ci_u32_e32 v6, vcc_lo, 0, v7, vcc_lo
	s_delay_alu instid0(VALU_DEP_2) | instskip(NEXT) | instid1(VALU_DEP_2)
	v_add_co_u32 v0, vcc_lo, v0, v8
	v_add_co_ci_u32_e32 v0, vcc_lo, v6, v9, vcc_lo
	v_add_co_ci_u32_e32 v6, vcc_lo, 0, v11, vcc_lo
	s_delay_alu instid0(VALU_DEP_2) | instskip(NEXT) | instid1(VALU_DEP_2)
	v_add_co_u32 v0, vcc_lo, v0, v10
	v_add_co_ci_u32_e32 v8, vcc_lo, 0, v6, vcc_lo
	s_delay_alu instid0(VALU_DEP_2) | instskip(SKIP_1) | instid1(VALU_DEP_3)
	v_mul_lo_u32 v9, s7, v0
	v_mad_u64_u32 v[6:7], null, s6, v0, 0
	v_mul_lo_u32 v8, s6, v8
	s_delay_alu instid0(VALU_DEP_2) | instskip(NEXT) | instid1(VALU_DEP_2)
	v_sub_co_u32 v6, vcc_lo, v14, v6
	v_add3_u32 v7, v7, v8, v9
	v_add_co_u32 v9, s2, v0, 2
	s_delay_alu instid0(VALU_DEP_2) | instskip(NEXT) | instid1(VALU_DEP_1)
	v_sub_nc_u32_e32 v8, v13, v7
	v_subrev_co_ci_u32_e64 v8, s2, s7, v8, vcc_lo
	v_sub_co_u32 v10, s2, v6, s6
	v_sub_co_ci_u32_e32 v7, vcc_lo, v13, v7, vcc_lo
	s_delay_alu instid0(VALU_DEP_3) | instskip(NEXT) | instid1(VALU_DEP_3)
	v_subrev_co_ci_u32_e64 v8, s2, 0, v8, s2
	v_cmp_le_u32_e32 vcc_lo, s6, v10
	v_cndmask_b32_e64 v10, 0, -1, vcc_lo
	s_delay_alu instid0(VALU_DEP_3)
	v_cmp_le_u32_e32 vcc_lo, s7, v8
	v_cndmask_b32_e64 v11, 0, -1, vcc_lo
	v_cmp_le_u32_e32 vcc_lo, s6, v6
	v_cndmask_b32_e64 v6, 0, -1, vcc_lo
	;; [unrolled: 2-line block ×3, first 2 shown]
	v_cmp_eq_u32_e32 vcc_lo, s7, v8
	v_cndmask_b32_e32 v8, v11, v10, vcc_lo
	v_add_co_u32 v10, vcc_lo, v0, 1
	v_cmp_eq_u32_e32 vcc_lo, s7, v7
	v_cndmask_b32_e32 v6, v13, v6, vcc_lo
	s_delay_alu instid0(VALU_DEP_4) | instskip(NEXT) | instid1(VALU_DEP_4)
	v_cmp_ne_u32_e32 vcc_lo, 0, v8
	v_cndmask_b32_e32 v7, v10, v9, vcc_lo
	s_delay_alu instid0(VALU_DEP_3) | instskip(SKIP_1) | instid1(VALU_DEP_3)
	v_cmp_ne_u32_e32 vcc_lo, 0, v6
	v_xor_b32_e32 v6, s4, v12
	v_cndmask_b32_e32 v0, v0, v7, vcc_lo
	s_delay_alu instid0(VALU_DEP_1) | instskip(NEXT) | instid1(VALU_DEP_1)
	v_xor_b32_e32 v0, v0, v6
	v_sub_co_u32 v6, vcc_lo, v0, v6
.LBB9_11:
	s_and_not1_saveexec_b32 s2, s10
	s_cbranch_execz .LBB9_13
; %bb.12:
	v_cvt_f32_u32_e32 v0, s3
	s_sub_i32 s4, 0, s3
	s_delay_alu instid0(VALU_DEP_1) | instskip(SKIP_2) | instid1(VALU_DEP_1)
	v_rcp_iflag_f32_e32 v0, v0
	s_waitcnt_depctr 0xfff
	v_mul_f32_e32 v0, 0x4f7ffffe, v0
	v_cvt_u32_f32_e32 v0, v0
	s_delay_alu instid0(VALU_DEP_1) | instskip(NEXT) | instid1(VALU_DEP_1)
	v_mul_lo_u32 v6, s4, v0
	v_mul_hi_u32 v6, v0, v6
	s_delay_alu instid0(VALU_DEP_1) | instskip(NEXT) | instid1(VALU_DEP_1)
	v_add_nc_u32_e32 v0, v0, v6
	v_mul_hi_u32 v0, v1, v0
	s_delay_alu instid0(VALU_DEP_1) | instskip(SKIP_1) | instid1(VALU_DEP_2)
	v_mul_lo_u32 v6, v0, s3
	v_add_nc_u32_e32 v7, 1, v0
	v_sub_nc_u32_e32 v6, v1, v6
	s_delay_alu instid0(VALU_DEP_1) | instskip(SKIP_1) | instid1(VALU_DEP_2)
	v_subrev_nc_u32_e32 v8, s3, v6
	v_cmp_le_u32_e32 vcc_lo, s3, v6
	v_cndmask_b32_e32 v6, v6, v8, vcc_lo
	v_cndmask_b32_e32 v0, v0, v7, vcc_lo
	s_delay_alu instid0(VALU_DEP_2) | instskip(NEXT) | instid1(VALU_DEP_2)
	v_cmp_le_u32_e32 vcc_lo, s3, v6
	v_add_nc_u32_e32 v7, 1, v0
	s_delay_alu instid0(VALU_DEP_1)
	v_cndmask_b32_e32 v6, v0, v7, vcc_lo
.LBB9_13:
	s_or_b32 exec_lo, exec_lo, s2
	s_clause 0x3
	s_load_b32 s12, s[0:1], 0xc0
	s_load_b128 s[36:39], s[0:1], 0xb0
	s_load_b512 s[16:31], s[0:1], 0x18
	s_load_b64 s[2:3], s[0:1], 0xa8
	v_mul_lo_u32 v0, v4, s8
	v_mul_lo_u32 v4, v3, s9
	v_mad_u64_u32 v[7:8], null, v3, s8, 0
	s_load_b256 s[4:11], s[0:1], 0x88
	v_ashrrev_i32_e32 v10, 31, v5
	s_delay_alu instid0(VALU_DEP_2) | instskip(NEXT) | instid1(VALU_DEP_3)
	v_add3_u32 v0, v8, v4, v0
	v_sub_co_u32 v4, vcc_lo, v1, v7
	v_ashrrev_i32_e32 v1, 31, v6
	s_delay_alu instid0(VALU_DEP_3)
	v_sub_co_ci_u32_e32 v7, vcc_lo, v2, v0, vcc_lo
	s_waitcnt lgkmcnt(0)
	s_add_i32 s15, s15, s12
	s_sub_i32 s12, 0, s38
	s_sub_i32 s13, 0, s37
	s_max_i32 s21, s12, 0
	s_max_i32 s33, s13, 0
	s_load_b64 s[12:13], s[0:1], 0x58
	s_add_i32 s20, s38, s20
	s_max_i32 s19, s38, 0
	s_add_i32 s20, s20, -1
	s_sub_i32 s19, s21, s19
	v_maxmin_i32 v0, s38, v4, s20
	s_ashr_i32 s20, s15, 31
	s_mul_hi_u32 s38, s4, s15
	s_mul_i32 s21, s4, s20
	s_mul_i32 s5, s5, s15
	s_add_i32 s21, s38, s21
	v_add_nc_u32_e32 v8, s19, v0
	v_mul_lo_u32 v2, s9, v6
	v_mul_lo_u32 v3, s8, v1
	v_mad_u64_u32 v[0:1], null, s8, v6, 0
	s_sub_i32 s17, 0, s36
	s_add_i32 s5, s21, s5
	s_mul_i32 s4, s4, s15
	s_max_i32 s17, s17, 0
	s_max_i32 s34, s37, 0
	s_max_i32 s35, s36, 0
	s_add_i32 s18, s37, s18
	s_add_i32 s16, s36, s16
	s_lshl_b64 s[4:5], s[4:5], 3
	s_add_i32 s14, s14, s39
	s_add_i32 s18, s18, -1
	s_sub_i32 s33, s33, s34
	s_add_i32 s16, s16, -1
	s_sub_i32 s17, s17, s35
	s_waitcnt lgkmcnt(0)
	s_add_u32 s12, s12, s4
	s_addc_u32 s13, s13, s5
	s_ashr_i32 s21, s14, 31
	v_add3_u32 v1, v1, v3, v2
	v_mul_lo_u32 v11, s11, v5
	v_mul_lo_u32 v10, s10, v10
	v_mad_u64_u32 v[2:3], null, s10, v5, 0
	s_mul_i32 s4, s6, s21
	s_mul_hi_u32 s5, s6, s14
	v_lshlrev_b64 v[0:1], 3, v[0:1]
	s_add_i32 s4, s5, s4
	s_mul_i32 s5, s7, s14
	v_maxmin_i32 v6, s36, v6, s16
	s_add_i32 s5, s4, s5
	s_mul_i32 s4, s6, s14
	v_add3_u32 v3, v3, v10, v11
	s_lshl_b64 s[4:5], s[4:5], 3
	v_maxmin_i32 v9, s37, v5, s18
	s_add_u32 s4, s12, s4
	v_add_nc_u32_e32 v5, s17, v6
	s_addc_u32 s5, s13, s5
	v_add_co_u32 v6, vcc_lo, s4, v0
	s_load_b64 s[0:1], s[0:1], 0x0
	v_add_co_ci_u32_e32 v10, vcc_lo, s5, v1, vcc_lo
	v_lshlrev_b64 v[0:1], 3, v[2:3]
	v_mul_lo_u32 v11, s3, v4
	v_mul_lo_u32 v7, s2, v7
	v_mad_u64_u32 v[2:3], null, s2, v4, 0
	v_add_nc_u32_e32 v9, s33, v9
	v_add_co_u32 v12, vcc_lo, v6, v0
	v_ashrrev_i32_e32 v0, 31, v5
	s_mul_i32 s3, s22, s20
	s_mul_hi_u32 s4, s22, s15
	v_add_co_ci_u32_e32 v10, vcc_lo, v10, v1, vcc_lo
	v_add3_u32 v3, v3, v7, v11
	v_mul_lo_u32 v6, s26, v0
	v_mul_lo_u32 v7, s27, v5
	v_ashrrev_i32_e32 v4, 31, v9
	v_mad_u64_u32 v[0:1], null, s26, v5, 0
	s_add_i32 s2, s4, s3
	s_mul_i32 s3, s23, s15
	s_delay_alu instid0(VALU_DEP_2)
	v_mul_lo_u32 v11, s28, v4
	s_add_i32 s3, s2, s3
	s_mul_i32 s2, s22, s15
	v_mul_lo_u32 v13, s29, v9
	v_mad_u64_u32 v[4:5], null, s28, v9, 0
	s_lshl_b64 s[2:3], s[2:3], 3
	v_add3_u32 v1, v1, v6, v7
	s_waitcnt lgkmcnt(0)
	s_add_u32 s2, s0, s2
	v_ashrrev_i32_e32 v6, 31, v8
	s_addc_u32 s3, s1, s3
	s_mul_i32 s0, s24, s21
	s_mul_hi_u32 s1, s24, s14
	v_lshlrev_b64 v[0:1], 3, v[0:1]
	s_add_i32 s0, s1, s0
	s_mul_i32 s1, s25, s14
	v_add3_u32 v5, v5, v11, v13
	s_add_i32 s1, s0, s1
	s_mul_i32 s0, s24, s14
	v_mul_lo_u32 v9, s30, v6
	v_mul_lo_u32 v11, s31, v8
	v_mad_u64_u32 v[6:7], null, s30, v8, 0
	s_lshl_b64 s[0:1], s[0:1], 3
	v_lshlrev_b64 v[4:5], 3, v[4:5]
	s_add_u32 s0, s2, s0
	s_addc_u32 s1, s3, s1
	v_add_co_u32 v0, vcc_lo, s0, v0
	v_add_co_ci_u32_e32 v1, vcc_lo, s1, v1, vcc_lo
	s_delay_alu instid0(VALU_DEP_4) | instskip(SKIP_1) | instid1(VALU_DEP_4)
	v_add3_u32 v7, v7, v9, v11
	v_lshlrev_b64 v[2:3], 3, v[2:3]
	v_add_co_u32 v4, vcc_lo, v0, v4
	s_delay_alu instid0(VALU_DEP_4) | instskip(NEXT) | instid1(VALU_DEP_4)
	v_add_co_ci_u32_e32 v5, vcc_lo, v1, v5, vcc_lo
	v_lshlrev_b64 v[0:1], 3, v[6:7]
	s_delay_alu instid0(VALU_DEP_4) | instskip(SKIP_2) | instid1(VALU_DEP_3)
	v_add_co_u32 v2, vcc_lo, v12, v2
	v_add_co_ci_u32_e32 v3, vcc_lo, v10, v3, vcc_lo
	s_mov_b32 s0, 0
	v_add_co_u32 v0, vcc_lo, v4, v0
	s_delay_alu instid0(VALU_DEP_4)
	v_add_co_ci_u32_e32 v1, vcc_lo, v5, v1, vcc_lo
	global_load_b64 v[2:3], v[2:3], off
	global_load_b32 v5, v[0:1], off
.LBB9_14:                               ; =>This Inner Loop Header: Depth=1
	s_waitcnt vmcnt(0)
	v_add_f32_e32 v4, v5, v2
	global_atomic_cmpswap_b32 v4, v[0:1], v[4:5], off glc
	s_waitcnt vmcnt(0)
	v_cmp_eq_u32_e32 vcc_lo, v4, v5
	v_mov_b32_e32 v5, v4
	s_or_b32 s0, vcc_lo, s0
	s_delay_alu instid0(SALU_CYCLE_1)
	s_and_not1_b32 exec_lo, exec_lo, s0
	s_cbranch_execnz .LBB9_14
; %bb.15:
	s_or_b32 exec_lo, exec_lo, s0
	global_load_b32 v5, v[0:1], off offset:4
	s_mov_b32 s0, 0
.LBB9_16:                               ; =>This Inner Loop Header: Depth=1
	s_waitcnt vmcnt(0)
	v_add_f32_e32 v4, v5, v3
	global_atomic_cmpswap_b32 v2, v[0:1], v[4:5], off offset:4 glc
	s_waitcnt vmcnt(0)
	v_cmp_eq_u32_e32 vcc_lo, v2, v5
	v_mov_b32_e32 v5, v2
	s_or_b32 s0, vcc_lo, s0
	s_delay_alu instid0(SALU_CYCLE_1)
	s_and_not1_b32 exec_lo, exec_lo, s0
	s_cbranch_execnz .LBB9_16
.LBB9_17:
	s_endpgm
	.section	.rodata,"a",@progbits
	.p2align	6, 0x0
	.amdhsa_kernel _ZN2at6native12_GLOBAL__N_131replication_pad_backward_kernelIN3c107complexIfEEEEvN5torch10headeronly6detail27GenericPackedTensorAccessorINS8_14TensorAccessorINS3_8ArrayRefIlEET_Lm4ENS7_16DefaultPtrTraitsElEENS_6detail16IndexBoundsCheckILm5ElEESD_Lm5ESE_lEENS9_INSA_ISC_KSD_Lm4ESE_lEESI_SK_Lm5ESE_lEEiiiii
		.amdhsa_group_segment_fixed_size 0
		.amdhsa_private_segment_fixed_size 0
		.amdhsa_kernarg_size 456
		.amdhsa_user_sgpr_count 13
		.amdhsa_user_sgpr_dispatch_ptr 0
		.amdhsa_user_sgpr_queue_ptr 0
		.amdhsa_user_sgpr_kernarg_segment_ptr 1
		.amdhsa_user_sgpr_dispatch_id 0
		.amdhsa_user_sgpr_private_segment_size 0
		.amdhsa_wavefront_size32 1
		.amdhsa_uses_dynamic_stack 0
		.amdhsa_enable_private_segment 0
		.amdhsa_system_sgpr_workgroup_id_x 1
		.amdhsa_system_sgpr_workgroup_id_y 1
		.amdhsa_system_sgpr_workgroup_id_z 1
		.amdhsa_system_sgpr_workgroup_info 0
		.amdhsa_system_vgpr_workitem_id 0
		.amdhsa_next_free_vgpr 17
		.amdhsa_next_free_sgpr 40
		.amdhsa_reserve_vcc 1
		.amdhsa_float_round_mode_32 0
		.amdhsa_float_round_mode_16_64 0
		.amdhsa_float_denorm_mode_32 3
		.amdhsa_float_denorm_mode_16_64 3
		.amdhsa_dx10_clamp 1
		.amdhsa_ieee_mode 1
		.amdhsa_fp16_overflow 0
		.amdhsa_workgroup_processor_mode 1
		.amdhsa_memory_ordered 1
		.amdhsa_forward_progress 0
		.amdhsa_shared_vgpr_count 0
		.amdhsa_exception_fp_ieee_invalid_op 0
		.amdhsa_exception_fp_denorm_src 0
		.amdhsa_exception_fp_ieee_div_zero 0
		.amdhsa_exception_fp_ieee_overflow 0
		.amdhsa_exception_fp_ieee_underflow 0
		.amdhsa_exception_fp_ieee_inexact 0
		.amdhsa_exception_int_div_zero 0
	.end_amdhsa_kernel
	.section	.text._ZN2at6native12_GLOBAL__N_131replication_pad_backward_kernelIN3c107complexIfEEEEvN5torch10headeronly6detail27GenericPackedTensorAccessorINS8_14TensorAccessorINS3_8ArrayRefIlEET_Lm4ENS7_16DefaultPtrTraitsElEENS_6detail16IndexBoundsCheckILm5ElEESD_Lm5ESE_lEENS9_INSA_ISC_KSD_Lm4ESE_lEESI_SK_Lm5ESE_lEEiiiii,"axG",@progbits,_ZN2at6native12_GLOBAL__N_131replication_pad_backward_kernelIN3c107complexIfEEEEvN5torch10headeronly6detail27GenericPackedTensorAccessorINS8_14TensorAccessorINS3_8ArrayRefIlEET_Lm4ENS7_16DefaultPtrTraitsElEENS_6detail16IndexBoundsCheckILm5ElEESD_Lm5ESE_lEENS9_INSA_ISC_KSD_Lm4ESE_lEESI_SK_Lm5ESE_lEEiiiii,comdat
.Lfunc_end9:
	.size	_ZN2at6native12_GLOBAL__N_131replication_pad_backward_kernelIN3c107complexIfEEEEvN5torch10headeronly6detail27GenericPackedTensorAccessorINS8_14TensorAccessorINS3_8ArrayRefIlEET_Lm4ENS7_16DefaultPtrTraitsElEENS_6detail16IndexBoundsCheckILm5ElEESD_Lm5ESE_lEENS9_INSA_ISC_KSD_Lm4ESE_lEESI_SK_Lm5ESE_lEEiiiii, .Lfunc_end9-_ZN2at6native12_GLOBAL__N_131replication_pad_backward_kernelIN3c107complexIfEEEEvN5torch10headeronly6detail27GenericPackedTensorAccessorINS8_14TensorAccessorINS3_8ArrayRefIlEET_Lm4ENS7_16DefaultPtrTraitsElEENS_6detail16IndexBoundsCheckILm5ElEESD_Lm5ESE_lEENS9_INSA_ISC_KSD_Lm4ESE_lEESI_SK_Lm5ESE_lEEiiiii
                                        ; -- End function
	.section	.AMDGPU.csdata,"",@progbits
; Kernel info:
; codeLenInByte = 3880
; NumSgprs: 42
; NumVgprs: 17
; ScratchSize: 0
; MemoryBound: 0
; FloatMode: 240
; IeeeMode: 1
; LDSByteSize: 0 bytes/workgroup (compile time only)
; SGPRBlocks: 5
; VGPRBlocks: 2
; NumSGPRsForWavesPerEU: 42
; NumVGPRsForWavesPerEU: 17
; Occupancy: 16
; WaveLimiterHint : 1
; COMPUTE_PGM_RSRC2:SCRATCH_EN: 0
; COMPUTE_PGM_RSRC2:USER_SGPR: 13
; COMPUTE_PGM_RSRC2:TRAP_HANDLER: 0
; COMPUTE_PGM_RSRC2:TGID_X_EN: 1
; COMPUTE_PGM_RSRC2:TGID_Y_EN: 1
; COMPUTE_PGM_RSRC2:TGID_Z_EN: 1
; COMPUTE_PGM_RSRC2:TIDIG_COMP_CNT: 0
	.section	.text._ZN2at6native12_GLOBAL__N_131replication_pad_backward_kernelIN3c104HalfEEEvN5torch10headeronly6detail27GenericPackedTensorAccessorINS7_14TensorAccessorINS3_8ArrayRefIlEET_Lm4ENS6_16DefaultPtrTraitsElEENS_6detail16IndexBoundsCheckILm5ElEESC_Lm5ESD_lEENS8_INS9_ISB_KSC_Lm4ESD_lEESH_SJ_Lm5ESD_lEEiiiii,"axG",@progbits,_ZN2at6native12_GLOBAL__N_131replication_pad_backward_kernelIN3c104HalfEEEvN5torch10headeronly6detail27GenericPackedTensorAccessorINS7_14TensorAccessorINS3_8ArrayRefIlEET_Lm4ENS6_16DefaultPtrTraitsElEENS_6detail16IndexBoundsCheckILm5ElEESC_Lm5ESD_lEENS8_INS9_ISB_KSC_Lm4ESD_lEESH_SJ_Lm5ESD_lEEiiiii,comdat
	.globl	_ZN2at6native12_GLOBAL__N_131replication_pad_backward_kernelIN3c104HalfEEEvN5torch10headeronly6detail27GenericPackedTensorAccessorINS7_14TensorAccessorINS3_8ArrayRefIlEET_Lm4ENS6_16DefaultPtrTraitsElEENS_6detail16IndexBoundsCheckILm5ElEESC_Lm5ESD_lEENS8_INS9_ISB_KSC_Lm4ESD_lEESH_SJ_Lm5ESD_lEEiiiii ; -- Begin function _ZN2at6native12_GLOBAL__N_131replication_pad_backward_kernelIN3c104HalfEEEvN5torch10headeronly6detail27GenericPackedTensorAccessorINS7_14TensorAccessorINS3_8ArrayRefIlEET_Lm4ENS6_16DefaultPtrTraitsElEENS_6detail16IndexBoundsCheckILm5ElEESC_Lm5ESD_lEENS8_INS9_ISB_KSC_Lm4ESD_lEESH_SJ_Lm5ESD_lEEiiiii
	.p2align	8
	.type	_ZN2at6native12_GLOBAL__N_131replication_pad_backward_kernelIN3c104HalfEEEvN5torch10headeronly6detail27GenericPackedTensorAccessorINS7_14TensorAccessorINS3_8ArrayRefIlEET_Lm4ENS6_16DefaultPtrTraitsElEENS_6detail16IndexBoundsCheckILm5ElEESC_Lm5ESD_lEENS8_INS9_ISB_KSC_Lm4ESD_lEESH_SJ_Lm5ESD_lEEiiiii,@function
_ZN2at6native12_GLOBAL__N_131replication_pad_backward_kernelIN3c104HalfEEEvN5torch10headeronly6detail27GenericPackedTensorAccessorINS7_14TensorAccessorINS3_8ArrayRefIlEET_Lm4ENS6_16DefaultPtrTraitsElEENS_6detail16IndexBoundsCheckILm5ElEESC_Lm5ESD_lEENS8_INS9_ISB_KSC_Lm4ESD_lEESH_SJ_Lm5ESD_lEEiiiii: ; @_ZN2at6native12_GLOBAL__N_131replication_pad_backward_kernelIN3c104HalfEEEvN5torch10headeronly6detail27GenericPackedTensorAccessorINS7_14TensorAccessorINS3_8ArrayRefIlEET_Lm4ENS6_16DefaultPtrTraitsElEENS_6detail16IndexBoundsCheckILm5ElEESC_Lm5ESD_lEENS8_INS9_ISB_KSC_Lm4ESD_lEESH_SJ_Lm5ESD_lEEiiiii
; %bb.0:
	s_clause 0x2
	s_load_b32 s2, s[0:1], 0xd4
	s_load_b128 s[4:7], s[0:1], 0x70
	s_load_b64 s[8:9], s[0:1], 0x80
	s_waitcnt lgkmcnt(0)
	s_and_b32 s2, s2, 0xffff
	s_delay_alu instid0(SALU_CYCLE_1)
	v_mad_u64_u32 v[1:2], null, s13, s2, v[0:1]
	s_mul_i32 s10, s8, s7
	s_mul_hi_u32 s11, s8, s6
	s_mul_i32 s2, s9, s6
	s_mul_i32 s3, s8, s6
	s_add_i32 s12, s11, s10
	s_mul_i32 s5, s3, s5
	s_mul_hi_u32 s10, s3, s4
	s_add_i32 s12, s12, s2
	v_ashrrev_i32_e32 v2, 31, v1
	s_add_i32 s2, s10, s5
	s_mul_i32 s5, s12, s4
	s_mul_i32 s4, s3, s4
	s_add_i32 s5, s2, s5
	s_mov_b32 s2, exec_lo
	v_cmpx_gt_i64_e64 s[4:5], v[1:2]
	s_cbranch_execz .LBB10_19
; %bb.1:
	v_or_b32_e32 v4, s9, v2
	v_mov_b32_e32 v3, 0
	s_delay_alu instid0(VALU_DEP_1) | instskip(SKIP_1) | instid1(SALU_CYCLE_1)
	v_cmp_ne_u64_e32 vcc_lo, 0, v[3:4]
                                        ; implicit-def: $vgpr3_vgpr4
	s_and_saveexec_b32 s2, vcc_lo
	s_xor_b32 s13, exec_lo, s2
	s_cbranch_execz .LBB10_3
; %bb.2:
	s_ashr_i32 s4, s9, 31
	s_delay_alu instid0(SALU_CYCLE_1) | instskip(SKIP_2) | instid1(SALU_CYCLE_1)
	s_add_u32 s10, s8, s4
	s_mov_b32 s5, s4
	s_addc_u32 s11, s9, s4
	s_xor_b64 s[10:11], s[10:11], s[4:5]
	s_delay_alu instid0(SALU_CYCLE_1) | instskip(SKIP_3) | instid1(VALU_DEP_1)
	v_cvt_f32_u32_e32 v0, s10
	v_cvt_f32_u32_e32 v3, s11
	s_sub_u32 s2, 0, s10
	s_subb_u32 s5, 0, s11
	v_fmamk_f32 v0, v3, 0x4f800000, v0
	s_delay_alu instid0(VALU_DEP_1) | instskip(SKIP_2) | instid1(VALU_DEP_1)
	v_rcp_f32_e32 v0, v0
	s_waitcnt_depctr 0xfff
	v_mul_f32_e32 v0, 0x5f7ffffc, v0
	v_mul_f32_e32 v3, 0x2f800000, v0
	s_delay_alu instid0(VALU_DEP_1) | instskip(NEXT) | instid1(VALU_DEP_1)
	v_trunc_f32_e32 v3, v3
	v_fmamk_f32 v0, v3, 0xcf800000, v0
	v_cvt_u32_f32_e32 v3, v3
	s_delay_alu instid0(VALU_DEP_2) | instskip(NEXT) | instid1(VALU_DEP_2)
	v_cvt_u32_f32_e32 v0, v0
	v_mul_lo_u32 v4, s2, v3
	s_delay_alu instid0(VALU_DEP_2) | instskip(SKIP_1) | instid1(VALU_DEP_2)
	v_mul_hi_u32 v5, s2, v0
	v_mul_lo_u32 v6, s5, v0
	v_add_nc_u32_e32 v4, v5, v4
	v_mul_lo_u32 v5, s2, v0
	s_delay_alu instid0(VALU_DEP_2) | instskip(NEXT) | instid1(VALU_DEP_2)
	v_add_nc_u32_e32 v4, v4, v6
	v_mul_hi_u32 v6, v0, v5
	s_delay_alu instid0(VALU_DEP_2)
	v_mul_lo_u32 v7, v0, v4
	v_mul_hi_u32 v8, v0, v4
	v_mul_hi_u32 v9, v3, v5
	v_mul_lo_u32 v5, v3, v5
	v_mul_hi_u32 v10, v3, v4
	v_mul_lo_u32 v4, v3, v4
	v_add_co_u32 v6, vcc_lo, v6, v7
	v_add_co_ci_u32_e32 v7, vcc_lo, 0, v8, vcc_lo
	s_delay_alu instid0(VALU_DEP_2) | instskip(NEXT) | instid1(VALU_DEP_2)
	v_add_co_u32 v5, vcc_lo, v6, v5
	v_add_co_ci_u32_e32 v5, vcc_lo, v7, v9, vcc_lo
	v_add_co_ci_u32_e32 v6, vcc_lo, 0, v10, vcc_lo
	v_ashrrev_i32_e32 v9, 31, v2
	s_delay_alu instid0(VALU_DEP_3) | instskip(NEXT) | instid1(VALU_DEP_3)
	v_add_co_u32 v4, vcc_lo, v5, v4
	v_add_co_ci_u32_e32 v5, vcc_lo, 0, v6, vcc_lo
	s_delay_alu instid0(VALU_DEP_2) | instskip(NEXT) | instid1(VALU_DEP_2)
	v_add_co_u32 v0, vcc_lo, v0, v4
	v_add_co_ci_u32_e32 v3, vcc_lo, v3, v5, vcc_lo
	s_delay_alu instid0(VALU_DEP_2) | instskip(SKIP_1) | instid1(VALU_DEP_3)
	v_mul_hi_u32 v4, s2, v0
	v_mul_lo_u32 v6, s5, v0
	v_mul_lo_u32 v5, s2, v3
	s_delay_alu instid0(VALU_DEP_1) | instskip(SKIP_1) | instid1(VALU_DEP_2)
	v_add_nc_u32_e32 v4, v4, v5
	v_mul_lo_u32 v5, s2, v0
	v_add_nc_u32_e32 v4, v4, v6
	s_delay_alu instid0(VALU_DEP_2) | instskip(NEXT) | instid1(VALU_DEP_2)
	v_mul_hi_u32 v6, v0, v5
	v_mul_lo_u32 v7, v0, v4
	v_mul_hi_u32 v8, v0, v4
	v_mul_hi_u32 v10, v3, v5
	v_mul_lo_u32 v5, v3, v5
	v_mul_hi_u32 v11, v3, v4
	v_mul_lo_u32 v4, v3, v4
	v_add_co_u32 v6, vcc_lo, v6, v7
	v_add_co_ci_u32_e32 v7, vcc_lo, 0, v8, vcc_lo
	s_delay_alu instid0(VALU_DEP_2) | instskip(NEXT) | instid1(VALU_DEP_2)
	v_add_co_u32 v5, vcc_lo, v6, v5
	v_add_co_ci_u32_e32 v5, vcc_lo, v7, v10, vcc_lo
	v_add_co_ci_u32_e32 v6, vcc_lo, 0, v11, vcc_lo
	v_add_co_u32 v7, vcc_lo, v1, v9
	v_add_co_ci_u32_e32 v8, vcc_lo, v2, v9, vcc_lo
	s_delay_alu instid0(VALU_DEP_4) | instskip(NEXT) | instid1(VALU_DEP_4)
	v_add_co_u32 v4, vcc_lo, v5, v4
	v_add_co_ci_u32_e32 v5, vcc_lo, 0, v6, vcc_lo
	s_delay_alu instid0(VALU_DEP_4) | instskip(NEXT) | instid1(VALU_DEP_3)
	v_xor_b32_e32 v10, v7, v9
	v_add_co_u32 v0, vcc_lo, v0, v4
	s_delay_alu instid0(VALU_DEP_3) | instskip(SKIP_1) | instid1(VALU_DEP_3)
	v_add_co_ci_u32_e32 v11, vcc_lo, v3, v5, vcc_lo
	v_xor_b32_e32 v12, v8, v9
	v_mul_hi_u32 v13, v10, v0
	s_delay_alu instid0(VALU_DEP_3) | instskip(NEXT) | instid1(VALU_DEP_3)
	v_mad_u64_u32 v[3:4], null, v10, v11, 0
	v_mad_u64_u32 v[5:6], null, v12, v0, 0
	;; [unrolled: 1-line block ×3, first 2 shown]
	s_delay_alu instid0(VALU_DEP_3) | instskip(NEXT) | instid1(VALU_DEP_4)
	v_add_co_u32 v0, vcc_lo, v13, v3
	v_add_co_ci_u32_e32 v3, vcc_lo, 0, v4, vcc_lo
	s_delay_alu instid0(VALU_DEP_2) | instskip(NEXT) | instid1(VALU_DEP_2)
	v_add_co_u32 v0, vcc_lo, v0, v5
	v_add_co_ci_u32_e32 v0, vcc_lo, v3, v6, vcc_lo
	v_add_co_ci_u32_e32 v3, vcc_lo, 0, v8, vcc_lo
	s_delay_alu instid0(VALU_DEP_2) | instskip(NEXT) | instid1(VALU_DEP_2)
	v_add_co_u32 v0, vcc_lo, v0, v7
	v_add_co_ci_u32_e32 v5, vcc_lo, 0, v3, vcc_lo
	s_delay_alu instid0(VALU_DEP_2) | instskip(SKIP_1) | instid1(VALU_DEP_3)
	v_mul_lo_u32 v6, s11, v0
	v_mad_u64_u32 v[3:4], null, s10, v0, 0
	v_mul_lo_u32 v7, s10, v5
	s_delay_alu instid0(VALU_DEP_2) | instskip(NEXT) | instid1(VALU_DEP_2)
	v_sub_co_u32 v3, vcc_lo, v10, v3
	v_add3_u32 v4, v4, v7, v6
	s_delay_alu instid0(VALU_DEP_1) | instskip(NEXT) | instid1(VALU_DEP_1)
	v_sub_nc_u32_e32 v6, v12, v4
	v_subrev_co_ci_u32_e64 v6, s2, s11, v6, vcc_lo
	v_add_co_u32 v7, s2, v0, 2
	s_delay_alu instid0(VALU_DEP_1) | instskip(SKIP_3) | instid1(VALU_DEP_3)
	v_add_co_ci_u32_e64 v8, s2, 0, v5, s2
	v_sub_co_u32 v10, s2, v3, s10
	v_sub_co_ci_u32_e32 v4, vcc_lo, v12, v4, vcc_lo
	v_subrev_co_ci_u32_e64 v6, s2, 0, v6, s2
	v_cmp_le_u32_e32 vcc_lo, s10, v10
	s_delay_alu instid0(VALU_DEP_3) | instskip(SKIP_1) | instid1(VALU_DEP_4)
	v_cmp_eq_u32_e64 s2, s11, v4
	v_cndmask_b32_e64 v10, 0, -1, vcc_lo
	v_cmp_le_u32_e32 vcc_lo, s11, v6
	v_cndmask_b32_e64 v11, 0, -1, vcc_lo
	v_cmp_le_u32_e32 vcc_lo, s10, v3
	;; [unrolled: 2-line block ×3, first 2 shown]
	v_cndmask_b32_e64 v12, 0, -1, vcc_lo
	v_cmp_eq_u32_e32 vcc_lo, s11, v6
	s_delay_alu instid0(VALU_DEP_2) | instskip(SKIP_3) | instid1(VALU_DEP_3)
	v_cndmask_b32_e64 v3, v12, v3, s2
	v_cndmask_b32_e32 v6, v11, v10, vcc_lo
	v_add_co_u32 v10, vcc_lo, v0, 1
	v_add_co_ci_u32_e32 v11, vcc_lo, 0, v5, vcc_lo
	v_cmp_ne_u32_e32 vcc_lo, 0, v6
	s_delay_alu instid0(VALU_DEP_2) | instskip(NEXT) | instid1(VALU_DEP_4)
	v_cndmask_b32_e32 v4, v11, v8, vcc_lo
	v_cndmask_b32_e32 v6, v10, v7, vcc_lo
	v_cmp_ne_u32_e32 vcc_lo, 0, v3
	v_xor_b32_e32 v7, s4, v9
	s_delay_alu instid0(VALU_DEP_3) | instskip(NEXT) | instid1(VALU_DEP_1)
	v_dual_cndmask_b32 v0, v0, v6 :: v_dual_cndmask_b32 v3, v5, v4
	v_xor_b32_e32 v0, v0, v7
	s_delay_alu instid0(VALU_DEP_2) | instskip(NEXT) | instid1(VALU_DEP_2)
	v_xor_b32_e32 v4, v3, v7
	v_sub_co_u32 v3, vcc_lo, v0, v7
	s_delay_alu instid0(VALU_DEP_2)
	v_sub_co_ci_u32_e32 v4, vcc_lo, v4, v7, vcc_lo
.LBB10_3:
	s_and_not1_saveexec_b32 s2, s13
	s_cbranch_execz .LBB10_5
; %bb.4:
	v_cvt_f32_u32_e32 v0, s8
	s_sub_i32 s4, 0, s8
	s_delay_alu instid0(VALU_DEP_1) | instskip(SKIP_2) | instid1(VALU_DEP_1)
	v_rcp_iflag_f32_e32 v0, v0
	s_waitcnt_depctr 0xfff
	v_mul_f32_e32 v0, 0x4f7ffffe, v0
	v_cvt_u32_f32_e32 v0, v0
	s_delay_alu instid0(VALU_DEP_1) | instskip(NEXT) | instid1(VALU_DEP_1)
	v_mul_lo_u32 v3, s4, v0
	v_mul_hi_u32 v3, v0, v3
	s_delay_alu instid0(VALU_DEP_1) | instskip(NEXT) | instid1(VALU_DEP_1)
	v_add_nc_u32_e32 v0, v0, v3
	v_mul_hi_u32 v0, v1, v0
	s_delay_alu instid0(VALU_DEP_1) | instskip(SKIP_1) | instid1(VALU_DEP_2)
	v_mul_lo_u32 v3, v0, s8
	v_add_nc_u32_e32 v4, 1, v0
	v_sub_nc_u32_e32 v3, v1, v3
	s_delay_alu instid0(VALU_DEP_1) | instskip(SKIP_1) | instid1(VALU_DEP_2)
	v_subrev_nc_u32_e32 v5, s8, v3
	v_cmp_le_u32_e32 vcc_lo, s8, v3
	v_dual_cndmask_b32 v3, v3, v5 :: v_dual_cndmask_b32 v0, v0, v4
	s_delay_alu instid0(VALU_DEP_1) | instskip(NEXT) | instid1(VALU_DEP_2)
	v_cmp_le_u32_e32 vcc_lo, s8, v3
	v_add_nc_u32_e32 v4, 1, v0
	s_delay_alu instid0(VALU_DEP_1)
	v_dual_cndmask_b32 v3, v0, v4 :: v_dual_mov_b32 v4, 0
.LBB10_5:
	s_or_b32 exec_lo, exec_lo, s2
	s_delay_alu instid0(VALU_DEP_1) | instskip(SKIP_1) | instid1(VALU_DEP_1)
	v_or_b32_e32 v6, s7, v4
	v_mov_b32_e32 v5, 0
	v_cmp_ne_u64_e32 vcc_lo, 0, v[5:6]
                                        ; implicit-def: $vgpr5_vgpr6
	s_and_saveexec_b32 s2, vcc_lo
	s_delay_alu instid0(SALU_CYCLE_1)
	s_xor_b32 s10, exec_lo, s2
	s_cbranch_execz .LBB10_7
; %bb.6:
	s_ashr_i32 s4, s7, 31
	s_delay_alu instid0(SALU_CYCLE_1) | instskip(SKIP_2) | instid1(SALU_CYCLE_1)
	s_add_u32 s16, s6, s4
	s_mov_b32 s5, s4
	s_addc_u32 s17, s7, s4
	s_xor_b64 s[4:5], s[16:17], s[4:5]
	s_delay_alu instid0(SALU_CYCLE_1) | instskip(SKIP_3) | instid1(VALU_DEP_1)
	v_cvt_f32_u32_e32 v0, s4
	v_cvt_f32_u32_e32 v5, s5
	s_sub_u32 s2, 0, s4
	s_subb_u32 s7, 0, s5
	v_fmamk_f32 v0, v5, 0x4f800000, v0
	s_delay_alu instid0(VALU_DEP_1) | instskip(SKIP_2) | instid1(VALU_DEP_1)
	v_rcp_f32_e32 v0, v0
	s_waitcnt_depctr 0xfff
	v_mul_f32_e32 v0, 0x5f7ffffc, v0
	v_mul_f32_e32 v5, 0x2f800000, v0
	s_delay_alu instid0(VALU_DEP_1) | instskip(NEXT) | instid1(VALU_DEP_1)
	v_trunc_f32_e32 v5, v5
	v_fmamk_f32 v0, v5, 0xcf800000, v0
	v_cvt_u32_f32_e32 v5, v5
	s_delay_alu instid0(VALU_DEP_2) | instskip(NEXT) | instid1(VALU_DEP_2)
	v_cvt_u32_f32_e32 v0, v0
	v_mul_lo_u32 v6, s2, v5
	s_delay_alu instid0(VALU_DEP_2) | instskip(SKIP_1) | instid1(VALU_DEP_2)
	v_mul_hi_u32 v7, s2, v0
	v_mul_lo_u32 v8, s7, v0
	v_add_nc_u32_e32 v6, v7, v6
	v_mul_lo_u32 v7, s2, v0
	s_delay_alu instid0(VALU_DEP_2) | instskip(NEXT) | instid1(VALU_DEP_2)
	v_add_nc_u32_e32 v6, v6, v8
	v_mul_hi_u32 v8, v0, v7
	s_delay_alu instid0(VALU_DEP_2)
	v_mul_lo_u32 v9, v0, v6
	v_mul_hi_u32 v10, v0, v6
	v_mul_hi_u32 v11, v5, v7
	v_mul_lo_u32 v7, v5, v7
	v_mul_hi_u32 v12, v5, v6
	v_mul_lo_u32 v6, v5, v6
	v_add_co_u32 v8, vcc_lo, v8, v9
	v_add_co_ci_u32_e32 v9, vcc_lo, 0, v10, vcc_lo
	s_delay_alu instid0(VALU_DEP_2) | instskip(NEXT) | instid1(VALU_DEP_2)
	v_add_co_u32 v7, vcc_lo, v8, v7
	v_add_co_ci_u32_e32 v7, vcc_lo, v9, v11, vcc_lo
	v_add_co_ci_u32_e32 v8, vcc_lo, 0, v12, vcc_lo
	v_ashrrev_i32_e32 v11, 31, v4
	s_delay_alu instid0(VALU_DEP_3) | instskip(NEXT) | instid1(VALU_DEP_3)
	v_add_co_u32 v6, vcc_lo, v7, v6
	v_add_co_ci_u32_e32 v7, vcc_lo, 0, v8, vcc_lo
	s_delay_alu instid0(VALU_DEP_2) | instskip(NEXT) | instid1(VALU_DEP_2)
	v_add_co_u32 v0, vcc_lo, v0, v6
	v_add_co_ci_u32_e32 v5, vcc_lo, v5, v7, vcc_lo
	s_delay_alu instid0(VALU_DEP_2) | instskip(SKIP_1) | instid1(VALU_DEP_3)
	v_mul_hi_u32 v6, s2, v0
	v_mul_lo_u32 v8, s7, v0
	v_mul_lo_u32 v7, s2, v5
	s_delay_alu instid0(VALU_DEP_1) | instskip(SKIP_1) | instid1(VALU_DEP_2)
	v_add_nc_u32_e32 v6, v6, v7
	v_mul_lo_u32 v7, s2, v0
	v_add_nc_u32_e32 v6, v6, v8
	s_delay_alu instid0(VALU_DEP_2) | instskip(NEXT) | instid1(VALU_DEP_2)
	v_mul_hi_u32 v8, v0, v7
	v_mul_lo_u32 v9, v0, v6
	v_mul_hi_u32 v10, v0, v6
	v_mul_hi_u32 v12, v5, v7
	v_mul_lo_u32 v7, v5, v7
	v_mul_hi_u32 v13, v5, v6
	v_mul_lo_u32 v6, v5, v6
	v_add_co_u32 v8, vcc_lo, v8, v9
	v_add_co_ci_u32_e32 v9, vcc_lo, 0, v10, vcc_lo
	s_delay_alu instid0(VALU_DEP_2) | instskip(NEXT) | instid1(VALU_DEP_2)
	v_add_co_u32 v7, vcc_lo, v8, v7
	v_add_co_ci_u32_e32 v7, vcc_lo, v9, v12, vcc_lo
	v_add_co_ci_u32_e32 v8, vcc_lo, 0, v13, vcc_lo
	v_add_co_u32 v9, vcc_lo, v3, v11
	v_add_co_ci_u32_e32 v10, vcc_lo, v4, v11, vcc_lo
	s_delay_alu instid0(VALU_DEP_4) | instskip(NEXT) | instid1(VALU_DEP_4)
	v_add_co_u32 v6, vcc_lo, v7, v6
	v_add_co_ci_u32_e32 v7, vcc_lo, 0, v8, vcc_lo
	s_delay_alu instid0(VALU_DEP_4) | instskip(NEXT) | instid1(VALU_DEP_3)
	v_xor_b32_e32 v12, v9, v11
	v_add_co_u32 v0, vcc_lo, v0, v6
	s_delay_alu instid0(VALU_DEP_3) | instskip(SKIP_1) | instid1(VALU_DEP_3)
	v_add_co_ci_u32_e32 v13, vcc_lo, v5, v7, vcc_lo
	v_xor_b32_e32 v14, v10, v11
	v_mul_hi_u32 v15, v12, v0
	s_delay_alu instid0(VALU_DEP_3) | instskip(NEXT) | instid1(VALU_DEP_3)
	v_mad_u64_u32 v[5:6], null, v12, v13, 0
	v_mad_u64_u32 v[7:8], null, v14, v0, 0
	;; [unrolled: 1-line block ×3, first 2 shown]
	s_delay_alu instid0(VALU_DEP_3) | instskip(NEXT) | instid1(VALU_DEP_4)
	v_add_co_u32 v0, vcc_lo, v15, v5
	v_add_co_ci_u32_e32 v5, vcc_lo, 0, v6, vcc_lo
	s_delay_alu instid0(VALU_DEP_2) | instskip(NEXT) | instid1(VALU_DEP_2)
	v_add_co_u32 v0, vcc_lo, v0, v7
	v_add_co_ci_u32_e32 v0, vcc_lo, v5, v8, vcc_lo
	v_add_co_ci_u32_e32 v5, vcc_lo, 0, v10, vcc_lo
	s_delay_alu instid0(VALU_DEP_2) | instskip(NEXT) | instid1(VALU_DEP_2)
	v_add_co_u32 v0, vcc_lo, v0, v9
	v_add_co_ci_u32_e32 v7, vcc_lo, 0, v5, vcc_lo
	s_delay_alu instid0(VALU_DEP_2) | instskip(SKIP_1) | instid1(VALU_DEP_3)
	v_mul_lo_u32 v8, s5, v0
	v_mad_u64_u32 v[5:6], null, s4, v0, 0
	v_mul_lo_u32 v0, s4, v7
	s_delay_alu instid0(VALU_DEP_2) | instskip(NEXT) | instid1(VALU_DEP_2)
	v_sub_co_u32 v5, vcc_lo, v12, v5
	v_add3_u32 v0, v6, v0, v8
	s_delay_alu instid0(VALU_DEP_1) | instskip(NEXT) | instid1(VALU_DEP_1)
	v_sub_nc_u32_e32 v6, v14, v0
	v_subrev_co_ci_u32_e64 v6, s2, s5, v6, vcc_lo
	s_delay_alu instid0(VALU_DEP_4) | instskip(SKIP_1) | instid1(VALU_DEP_3)
	v_sub_co_u32 v7, s2, v5, s4
	v_sub_co_ci_u32_e32 v0, vcc_lo, v14, v0, vcc_lo
	v_subrev_co_ci_u32_e64 v6, s2, 0, v6, s2
	s_delay_alu instid0(VALU_DEP_3) | instskip(SKIP_1) | instid1(VALU_DEP_3)
	v_cmp_le_u32_e32 vcc_lo, s4, v7
	v_cndmask_b32_e64 v8, 0, -1, vcc_lo
	v_cmp_le_u32_e32 vcc_lo, s5, v6
	v_cndmask_b32_e64 v9, 0, -1, vcc_lo
	;; [unrolled: 2-line block ×4, first 2 shown]
	v_cmp_eq_u32_e32 vcc_lo, s5, v6
	v_cndmask_b32_e32 v6, v9, v8, vcc_lo
	v_sub_co_u32 v8, vcc_lo, v7, s4
	v_cmp_eq_u32_e32 vcc_lo, s5, v0
	v_cndmask_b32_e32 v0, v12, v10, vcc_lo
	s_delay_alu instid0(VALU_DEP_4) | instskip(NEXT) | instid1(VALU_DEP_4)
	v_cmp_ne_u32_e32 vcc_lo, 0, v6
	v_cndmask_b32_e32 v6, v7, v8, vcc_lo
	s_delay_alu instid0(VALU_DEP_3) | instskip(NEXT) | instid1(VALU_DEP_2)
	v_cmp_ne_u32_e32 vcc_lo, 0, v0
	v_cndmask_b32_e32 v0, v5, v6, vcc_lo
	s_delay_alu instid0(VALU_DEP_1) | instskip(NEXT) | instid1(VALU_DEP_1)
	v_xor_b32_e32 v0, v0, v11
	v_sub_co_u32 v5, vcc_lo, v0, v11
.LBB10_7:
	s_and_not1_saveexec_b32 s2, s10
	s_cbranch_execz .LBB10_9
; %bb.8:
	v_cvt_f32_u32_e32 v0, s6
	s_sub_i32 s4, 0, s6
	s_delay_alu instid0(VALU_DEP_1) | instskip(SKIP_2) | instid1(VALU_DEP_1)
	v_rcp_iflag_f32_e32 v0, v0
	s_waitcnt_depctr 0xfff
	v_mul_f32_e32 v0, 0x4f7ffffe, v0
	v_cvt_u32_f32_e32 v0, v0
	s_delay_alu instid0(VALU_DEP_1) | instskip(NEXT) | instid1(VALU_DEP_1)
	v_mul_lo_u32 v5, s4, v0
	v_mul_hi_u32 v5, v0, v5
	s_delay_alu instid0(VALU_DEP_1) | instskip(NEXT) | instid1(VALU_DEP_1)
	v_add_nc_u32_e32 v0, v0, v5
	v_mul_hi_u32 v0, v3, v0
	s_delay_alu instid0(VALU_DEP_1) | instskip(NEXT) | instid1(VALU_DEP_1)
	v_mul_lo_u32 v0, v0, s6
	v_sub_nc_u32_e32 v0, v3, v0
	s_delay_alu instid0(VALU_DEP_1) | instskip(SKIP_1) | instid1(VALU_DEP_2)
	v_subrev_nc_u32_e32 v5, s6, v0
	v_cmp_le_u32_e32 vcc_lo, s6, v0
	v_cndmask_b32_e32 v0, v0, v5, vcc_lo
	s_delay_alu instid0(VALU_DEP_1) | instskip(SKIP_1) | instid1(VALU_DEP_2)
	v_subrev_nc_u32_e32 v5, s6, v0
	v_cmp_le_u32_e32 vcc_lo, s6, v0
	v_cndmask_b32_e32 v5, v0, v5, vcc_lo
.LBB10_9:
	s_or_b32 exec_lo, exec_lo, s2
	v_or_b32_e32 v7, s12, v2
	v_mov_b32_e32 v6, 0
	s_delay_alu instid0(VALU_DEP_1) | instskip(SKIP_1) | instid1(SALU_CYCLE_1)
	v_cmp_ne_u64_e32 vcc_lo, 0, v[6:7]
                                        ; implicit-def: $vgpr6_vgpr7
	s_and_saveexec_b32 s2, vcc_lo
	s_xor_b32 s10, exec_lo, s2
	s_cbranch_execz .LBB10_11
; %bb.10:
	s_ashr_i32 s4, s12, 31
	s_delay_alu instid0(SALU_CYCLE_1) | instskip(SKIP_2) | instid1(SALU_CYCLE_1)
	s_add_u32 s6, s3, s4
	s_mov_b32 s5, s4
	s_addc_u32 s7, s12, s4
	s_xor_b64 s[6:7], s[6:7], s[4:5]
	s_delay_alu instid0(SALU_CYCLE_1) | instskip(SKIP_3) | instid1(VALU_DEP_1)
	v_cvt_f32_u32_e32 v0, s6
	v_cvt_f32_u32_e32 v6, s7
	s_sub_u32 s2, 0, s6
	s_subb_u32 s5, 0, s7
	v_fmamk_f32 v0, v6, 0x4f800000, v0
	s_delay_alu instid0(VALU_DEP_1) | instskip(SKIP_2) | instid1(VALU_DEP_1)
	v_rcp_f32_e32 v0, v0
	s_waitcnt_depctr 0xfff
	v_mul_f32_e32 v0, 0x5f7ffffc, v0
	v_mul_f32_e32 v6, 0x2f800000, v0
	s_delay_alu instid0(VALU_DEP_1) | instskip(NEXT) | instid1(VALU_DEP_1)
	v_trunc_f32_e32 v6, v6
	v_fmamk_f32 v0, v6, 0xcf800000, v0
	v_cvt_u32_f32_e32 v6, v6
	s_delay_alu instid0(VALU_DEP_2) | instskip(NEXT) | instid1(VALU_DEP_2)
	v_cvt_u32_f32_e32 v0, v0
	v_mul_lo_u32 v7, s2, v6
	s_delay_alu instid0(VALU_DEP_2) | instskip(SKIP_1) | instid1(VALU_DEP_2)
	v_mul_hi_u32 v8, s2, v0
	v_mul_lo_u32 v9, s5, v0
	v_add_nc_u32_e32 v7, v8, v7
	v_mul_lo_u32 v8, s2, v0
	s_delay_alu instid0(VALU_DEP_2) | instskip(NEXT) | instid1(VALU_DEP_2)
	v_add_nc_u32_e32 v7, v7, v9
	v_mul_hi_u32 v9, v0, v8
	s_delay_alu instid0(VALU_DEP_2)
	v_mul_lo_u32 v10, v0, v7
	v_mul_hi_u32 v11, v0, v7
	v_mul_hi_u32 v12, v6, v8
	v_mul_lo_u32 v8, v6, v8
	v_mul_hi_u32 v13, v6, v7
	v_mul_lo_u32 v7, v6, v7
	v_add_co_u32 v9, vcc_lo, v9, v10
	v_add_co_ci_u32_e32 v10, vcc_lo, 0, v11, vcc_lo
	s_delay_alu instid0(VALU_DEP_2) | instskip(NEXT) | instid1(VALU_DEP_2)
	v_add_co_u32 v8, vcc_lo, v9, v8
	v_add_co_ci_u32_e32 v8, vcc_lo, v10, v12, vcc_lo
	v_add_co_ci_u32_e32 v9, vcc_lo, 0, v13, vcc_lo
	v_mov_b32_e32 v12, v2
	s_delay_alu instid0(VALU_DEP_3) | instskip(NEXT) | instid1(VALU_DEP_3)
	v_add_co_u32 v7, vcc_lo, v8, v7
	v_add_co_ci_u32_e32 v8, vcc_lo, 0, v9, vcc_lo
	v_mov_b32_e32 v13, v2
	s_delay_alu instid0(VALU_DEP_3) | instskip(NEXT) | instid1(VALU_DEP_3)
	v_add_co_u32 v0, vcc_lo, v0, v7
	v_add_co_ci_u32_e32 v6, vcc_lo, v6, v8, vcc_lo
	s_delay_alu instid0(VALU_DEP_2) | instskip(SKIP_1) | instid1(VALU_DEP_3)
	v_mul_hi_u32 v7, s2, v0
	v_mul_lo_u32 v9, s5, v0
	v_mul_lo_u32 v8, s2, v6
	s_delay_alu instid0(VALU_DEP_1) | instskip(SKIP_1) | instid1(VALU_DEP_2)
	v_add_nc_u32_e32 v7, v7, v8
	v_mul_lo_u32 v8, s2, v0
	v_add_nc_u32_e32 v7, v7, v9
	s_delay_alu instid0(VALU_DEP_2) | instskip(NEXT) | instid1(VALU_DEP_2)
	v_mul_hi_u32 v9, v0, v8
	v_mul_lo_u32 v10, v0, v7
	v_mul_hi_u32 v11, v0, v7
	v_mul_hi_u32 v14, v6, v8
	v_mul_lo_u32 v8, v6, v8
	v_mul_hi_u32 v15, v6, v7
	v_mul_lo_u32 v7, v6, v7
	v_add_co_u32 v9, vcc_lo, v9, v10
	v_add_co_ci_u32_e32 v10, vcc_lo, 0, v11, vcc_lo
	s_delay_alu instid0(VALU_DEP_2) | instskip(NEXT) | instid1(VALU_DEP_2)
	v_add_co_u32 v8, vcc_lo, v9, v8
	v_add_co_ci_u32_e32 v8, vcc_lo, v10, v14, vcc_lo
	v_add_co_ci_u32_e32 v9, vcc_lo, 0, v15, vcc_lo
	v_add_co_u32 v10, vcc_lo, v1, v12
	v_add_co_ci_u32_e32 v11, vcc_lo, v2, v13, vcc_lo
	s_delay_alu instid0(VALU_DEP_4) | instskip(NEXT) | instid1(VALU_DEP_4)
	v_add_co_u32 v7, vcc_lo, v8, v7
	v_add_co_ci_u32_e32 v8, vcc_lo, 0, v9, vcc_lo
	s_delay_alu instid0(VALU_DEP_4) | instskip(NEXT) | instid1(VALU_DEP_3)
	v_xor_b32_e32 v14, v10, v12
	v_add_co_u32 v0, vcc_lo, v0, v7
	s_delay_alu instid0(VALU_DEP_3) | instskip(SKIP_1) | instid1(VALU_DEP_3)
	v_add_co_ci_u32_e32 v15, vcc_lo, v6, v8, vcc_lo
	v_xor_b32_e32 v13, v11, v13
	v_mul_hi_u32 v16, v14, v0
	s_delay_alu instid0(VALU_DEP_3) | instskip(NEXT) | instid1(VALU_DEP_3)
	v_mad_u64_u32 v[6:7], null, v14, v15, 0
	v_mad_u64_u32 v[8:9], null, v13, v0, 0
	;; [unrolled: 1-line block ×3, first 2 shown]
	s_delay_alu instid0(VALU_DEP_3) | instskip(NEXT) | instid1(VALU_DEP_4)
	v_add_co_u32 v0, vcc_lo, v16, v6
	v_add_co_ci_u32_e32 v6, vcc_lo, 0, v7, vcc_lo
	s_delay_alu instid0(VALU_DEP_2) | instskip(NEXT) | instid1(VALU_DEP_2)
	v_add_co_u32 v0, vcc_lo, v0, v8
	v_add_co_ci_u32_e32 v0, vcc_lo, v6, v9, vcc_lo
	v_add_co_ci_u32_e32 v6, vcc_lo, 0, v11, vcc_lo
	s_delay_alu instid0(VALU_DEP_2) | instskip(NEXT) | instid1(VALU_DEP_2)
	v_add_co_u32 v0, vcc_lo, v0, v10
	v_add_co_ci_u32_e32 v8, vcc_lo, 0, v6, vcc_lo
	s_delay_alu instid0(VALU_DEP_2) | instskip(SKIP_1) | instid1(VALU_DEP_3)
	v_mul_lo_u32 v9, s7, v0
	v_mad_u64_u32 v[6:7], null, s6, v0, 0
	v_mul_lo_u32 v8, s6, v8
	s_delay_alu instid0(VALU_DEP_2) | instskip(NEXT) | instid1(VALU_DEP_2)
	v_sub_co_u32 v6, vcc_lo, v14, v6
	v_add3_u32 v7, v7, v8, v9
	v_add_co_u32 v9, s2, v0, 2
	s_delay_alu instid0(VALU_DEP_2) | instskip(NEXT) | instid1(VALU_DEP_1)
	v_sub_nc_u32_e32 v8, v13, v7
	v_subrev_co_ci_u32_e64 v8, s2, s7, v8, vcc_lo
	v_sub_co_u32 v10, s2, v6, s6
	v_sub_co_ci_u32_e32 v7, vcc_lo, v13, v7, vcc_lo
	s_delay_alu instid0(VALU_DEP_3) | instskip(NEXT) | instid1(VALU_DEP_3)
	v_subrev_co_ci_u32_e64 v8, s2, 0, v8, s2
	v_cmp_le_u32_e32 vcc_lo, s6, v10
	v_cndmask_b32_e64 v10, 0, -1, vcc_lo
	s_delay_alu instid0(VALU_DEP_3)
	v_cmp_le_u32_e32 vcc_lo, s7, v8
	v_cndmask_b32_e64 v11, 0, -1, vcc_lo
	v_cmp_le_u32_e32 vcc_lo, s6, v6
	v_cndmask_b32_e64 v6, 0, -1, vcc_lo
	;; [unrolled: 2-line block ×3, first 2 shown]
	v_cmp_eq_u32_e32 vcc_lo, s7, v8
	v_cndmask_b32_e32 v8, v11, v10, vcc_lo
	v_add_co_u32 v10, vcc_lo, v0, 1
	v_cmp_eq_u32_e32 vcc_lo, s7, v7
	v_cndmask_b32_e32 v6, v13, v6, vcc_lo
	s_delay_alu instid0(VALU_DEP_4) | instskip(NEXT) | instid1(VALU_DEP_4)
	v_cmp_ne_u32_e32 vcc_lo, 0, v8
	v_cndmask_b32_e32 v7, v10, v9, vcc_lo
	s_delay_alu instid0(VALU_DEP_3) | instskip(SKIP_1) | instid1(VALU_DEP_3)
	v_cmp_ne_u32_e32 vcc_lo, 0, v6
	v_xor_b32_e32 v6, s4, v12
	v_cndmask_b32_e32 v0, v0, v7, vcc_lo
	s_delay_alu instid0(VALU_DEP_1) | instskip(NEXT) | instid1(VALU_DEP_1)
	v_xor_b32_e32 v0, v0, v6
	v_sub_co_u32 v6, vcc_lo, v0, v6
.LBB10_11:
	s_and_not1_saveexec_b32 s2, s10
	s_cbranch_execz .LBB10_13
; %bb.12:
	v_cvt_f32_u32_e32 v0, s3
	s_sub_i32 s4, 0, s3
	s_delay_alu instid0(VALU_DEP_1) | instskip(SKIP_2) | instid1(VALU_DEP_1)
	v_rcp_iflag_f32_e32 v0, v0
	s_waitcnt_depctr 0xfff
	v_mul_f32_e32 v0, 0x4f7ffffe, v0
	v_cvt_u32_f32_e32 v0, v0
	s_delay_alu instid0(VALU_DEP_1) | instskip(NEXT) | instid1(VALU_DEP_1)
	v_mul_lo_u32 v6, s4, v0
	v_mul_hi_u32 v6, v0, v6
	s_delay_alu instid0(VALU_DEP_1) | instskip(NEXT) | instid1(VALU_DEP_1)
	v_add_nc_u32_e32 v0, v0, v6
	v_mul_hi_u32 v0, v1, v0
	s_delay_alu instid0(VALU_DEP_1) | instskip(SKIP_1) | instid1(VALU_DEP_2)
	v_mul_lo_u32 v6, v0, s3
	v_add_nc_u32_e32 v7, 1, v0
	v_sub_nc_u32_e32 v6, v1, v6
	s_delay_alu instid0(VALU_DEP_1) | instskip(SKIP_1) | instid1(VALU_DEP_2)
	v_subrev_nc_u32_e32 v8, s3, v6
	v_cmp_le_u32_e32 vcc_lo, s3, v6
	v_cndmask_b32_e32 v6, v6, v8, vcc_lo
	v_cndmask_b32_e32 v0, v0, v7, vcc_lo
	s_delay_alu instid0(VALU_DEP_2) | instskip(NEXT) | instid1(VALU_DEP_2)
	v_cmp_le_u32_e32 vcc_lo, s3, v6
	v_add_nc_u32_e32 v7, 1, v0
	s_delay_alu instid0(VALU_DEP_1)
	v_cndmask_b32_e32 v6, v0, v7, vcc_lo
.LBB10_13:
	s_or_b32 exec_lo, exec_lo, s2
	s_clause 0x3
	s_load_b32 s12, s[0:1], 0xc0
	s_load_b128 s[36:39], s[0:1], 0xb0
	s_load_b512 s[16:31], s[0:1], 0x18
	s_load_b64 s[2:3], s[0:1], 0xa8
	v_mul_lo_u32 v0, v4, s8
	v_mul_lo_u32 v4, v3, s9
	v_mad_u64_u32 v[7:8], null, v3, s8, 0
	s_load_b256 s[4:11], s[0:1], 0x88
	v_ashrrev_i32_e32 v10, 31, v5
	s_delay_alu instid0(VALU_DEP_2) | instskip(NEXT) | instid1(VALU_DEP_3)
	v_add3_u32 v0, v8, v4, v0
	v_sub_co_u32 v4, vcc_lo, v1, v7
	v_ashrrev_i32_e32 v1, 31, v6
	s_delay_alu instid0(VALU_DEP_3)
	v_sub_co_ci_u32_e32 v7, vcc_lo, v2, v0, vcc_lo
	s_waitcnt lgkmcnt(0)
	s_add_i32 s15, s15, s12
	s_sub_i32 s12, 0, s38
	s_sub_i32 s13, 0, s37
	s_max_i32 s21, s12, 0
	s_max_i32 s33, s13, 0
	s_load_b64 s[12:13], s[0:1], 0x58
	s_add_i32 s20, s38, s20
	s_max_i32 s19, s38, 0
	s_add_i32 s20, s20, -1
	s_sub_i32 s19, s21, s19
	v_maxmin_i32 v0, s38, v4, s20
	s_ashr_i32 s20, s15, 31
	s_mul_hi_u32 s38, s4, s15
	s_mul_i32 s21, s4, s20
	s_mul_i32 s5, s5, s15
	s_add_i32 s21, s38, s21
	v_add_nc_u32_e32 v8, s19, v0
	v_mul_lo_u32 v2, s9, v6
	v_mul_lo_u32 v3, s8, v1
	v_mad_u64_u32 v[0:1], null, s8, v6, 0
	s_sub_i32 s17, 0, s36
	s_add_i32 s5, s21, s5
	s_mul_i32 s4, s4, s15
	s_max_i32 s17, s17, 0
	s_max_i32 s34, s37, 0
	;; [unrolled: 1-line block ×3, first 2 shown]
	s_add_i32 s18, s37, s18
	s_add_i32 s16, s36, s16
	s_lshl_b64 s[4:5], s[4:5], 1
	s_add_i32 s14, s14, s39
	s_add_i32 s18, s18, -1
	s_sub_i32 s33, s33, s34
	s_add_i32 s16, s16, -1
	s_sub_i32 s17, s17, s35
	s_waitcnt lgkmcnt(0)
	s_add_u32 s12, s12, s4
	s_addc_u32 s13, s13, s5
	s_ashr_i32 s21, s14, 31
	v_add3_u32 v1, v1, v3, v2
	v_mul_lo_u32 v11, s11, v5
	v_mul_lo_u32 v10, s10, v10
	v_mad_u64_u32 v[2:3], null, s10, v5, 0
	s_mul_i32 s4, s6, s21
	s_mul_hi_u32 s5, s6, s14
	v_lshlrev_b64 v[0:1], 1, v[0:1]
	s_add_i32 s4, s5, s4
	s_mul_i32 s5, s7, s14
	v_maxmin_i32 v6, s36, v6, s16
	s_add_i32 s5, s4, s5
	s_mul_i32 s4, s6, s14
	v_add3_u32 v3, v3, v10, v11
	s_lshl_b64 s[4:5], s[4:5], 1
	v_maxmin_i32 v9, s37, v5, s18
	s_add_u32 s4, s12, s4
	v_add_nc_u32_e32 v5, s17, v6
	s_addc_u32 s5, s13, s5
	v_add_co_u32 v6, vcc_lo, s4, v0
	s_load_b64 s[0:1], s[0:1], 0x0
	v_add_co_ci_u32_e32 v10, vcc_lo, s5, v1, vcc_lo
	v_lshlrev_b64 v[0:1], 1, v[2:3]
	v_mul_lo_u32 v11, s3, v4
	v_mul_lo_u32 v7, s2, v7
	v_mad_u64_u32 v[2:3], null, s2, v4, 0
	v_add_nc_u32_e32 v9, s33, v9
	v_add_co_u32 v12, vcc_lo, v6, v0
	v_ashrrev_i32_e32 v0, 31, v5
	v_add_co_ci_u32_e32 v10, vcc_lo, v10, v1, vcc_lo
	v_add3_u32 v3, v3, v7, v11
	v_ashrrev_i32_e32 v4, 31, v9
	s_delay_alu instid0(VALU_DEP_4)
	v_mul_lo_u32 v6, s26, v0
	v_mul_lo_u32 v7, s27, v5
	v_mad_u64_u32 v[0:1], null, s26, v5, 0
	s_mul_i32 s3, s22, s20
	s_mul_hi_u32 s4, s22, s15
	s_mul_i32 s2, s22, s15
	s_add_i32 s3, s4, s3
	s_mul_i32 s4, s23, s15
	v_mul_lo_u32 v11, s28, v4
	s_add_i32 s3, s3, s4
	v_mul_lo_u32 v13, s29, v9
	v_ashrrev_i32_e32 v14, 31, v8
	v_mad_u64_u32 v[4:5], null, s28, v9, 0
	s_lshl_b64 s[2:3], s[2:3], 1
	v_add3_u32 v1, v1, v6, v7
	s_waitcnt lgkmcnt(0)
	s_add_u32 s2, s0, s2
	s_mul_i32 s0, s24, s21
	s_mul_hi_u32 s4, s24, s14
	v_mul_lo_u32 v9, s30, v14
	v_mul_lo_u32 v14, s31, v8
	v_mad_u64_u32 v[6:7], null, s30, v8, 0
	s_addc_u32 s3, s1, s3
	s_add_i32 s0, s4, s0
	s_mul_i32 s1, s25, s14
	v_add3_u32 v5, v5, v11, v13
	s_add_i32 s1, s0, s1
	s_mul_i32 s0, s24, s14
	v_lshlrev_b64 v[0:1], 1, v[0:1]
	s_lshl_b64 s[0:1], s[0:1], 1
	v_lshlrev_b64 v[4:5], 1, v[4:5]
	s_add_u32 s0, s2, s0
	v_add3_u32 v7, v7, v9, v14
	s_addc_u32 s1, s3, s1
	v_add_co_u32 v8, vcc_lo, s0, v0
	v_add_co_ci_u32_e32 v9, vcc_lo, s1, v1, vcc_lo
	s_delay_alu instid0(VALU_DEP_3) | instskip(NEXT) | instid1(VALU_DEP_3)
	v_lshlrev_b64 v[0:1], 1, v[6:7]
	v_add_co_u32 v4, vcc_lo, v8, v4
	v_lshlrev_b64 v[2:3], 1, v[2:3]
	s_delay_alu instid0(VALU_DEP_4) | instskip(NEXT) | instid1(VALU_DEP_3)
	v_add_co_ci_u32_e32 v5, vcc_lo, v9, v5, vcc_lo
	v_add_co_u32 v6, vcc_lo, v4, v0
	s_mov_b32 s2, 0
	s_delay_alu instid0(VALU_DEP_3) | instskip(NEXT) | instid1(VALU_DEP_1)
	v_add_co_u32 v2, s0, v12, v2
	v_add_co_ci_u32_e64 v3, s0, v10, v3, s0
	v_add_co_ci_u32_e32 v1, vcc_lo, v5, v1, vcc_lo
	v_and_b32_e32 v0, -3, v6
	global_load_u16 v4, v[2:3], off
	global_load_b32 v3, v[0:1], off
	v_dual_mov_b32 v6, 0 :: v_dual_and_b32 v5, 2, v6
	s_delay_alu instid0(VALU_DEP_1) | instskip(NEXT) | instid1(VALU_DEP_2)
	v_cmp_ne_u32_e64 s0, 0, v5
	v_cmp_eq_u64_e32 vcc_lo, 0, v[5:6]
	s_set_inst_prefetch_distance 0x1
	s_branch .LBB10_15
	.p2align	6
.LBB10_14:                              ;   in Loop: Header=BB10_15 Depth=1
	s_or_b32 exec_lo, exec_lo, s1
	global_atomic_cmpswap_b32 v2, v[0:1], v[2:3], off glc
	s_waitcnt vmcnt(0)
	v_cmp_eq_u32_e64 s1, v3, v2
	v_mov_b32_e32 v3, v2
	s_delay_alu instid0(VALU_DEP_2) | instskip(NEXT) | instid1(SALU_CYCLE_1)
	s_or_b32 s2, s1, s2
	s_and_not1_b32 exec_lo, exec_lo, s2
	s_cbranch_execz .LBB10_19
.LBB10_15:                              ; =>This Inner Loop Header: Depth=1
	s_waitcnt vmcnt(0)
	v_lshrrev_b32_e32 v2, 16, v3
	s_delay_alu instid0(VALU_DEP_1) | instskip(NEXT) | instid1(VALU_DEP_1)
	v_cndmask_b32_e32 v2, v2, v3, vcc_lo
	v_add_f16_e32 v2, v4, v2
	s_delay_alu instid0(VALU_DEP_1) | instskip(SKIP_1) | instid1(SALU_CYCLE_1)
	v_and_b32_e32 v5, 0xffff, v2
	s_and_saveexec_b32 s1, s0
	s_xor_b32 s1, exec_lo, s1
; %bb.16:                               ;   in Loop: Header=BB10_15 Depth=1
	v_and_b32_e32 v2, 0xffff, v3
	s_delay_alu instid0(VALU_DEP_1)
	v_lshl_or_b32 v2, v5, 16, v2
                                        ; implicit-def: $vgpr5
; %bb.17:                               ;   in Loop: Header=BB10_15 Depth=1
	s_and_not1_saveexec_b32 s1, s1
	s_cbranch_execz .LBB10_14
; %bb.18:                               ;   in Loop: Header=BB10_15 Depth=1
	v_and_or_b32 v2, 0xffff0000, v3, v5
	s_branch .LBB10_14
.LBB10_19:
	s_set_inst_prefetch_distance 0x2
	s_endpgm
	.section	.rodata,"a",@progbits
	.p2align	6, 0x0
	.amdhsa_kernel _ZN2at6native12_GLOBAL__N_131replication_pad_backward_kernelIN3c104HalfEEEvN5torch10headeronly6detail27GenericPackedTensorAccessorINS7_14TensorAccessorINS3_8ArrayRefIlEET_Lm4ENS6_16DefaultPtrTraitsElEENS_6detail16IndexBoundsCheckILm5ElEESC_Lm5ESD_lEENS8_INS9_ISB_KSC_Lm4ESD_lEESH_SJ_Lm5ESD_lEEiiiii
		.amdhsa_group_segment_fixed_size 0
		.amdhsa_private_segment_fixed_size 0
		.amdhsa_kernarg_size 456
		.amdhsa_user_sgpr_count 13
		.amdhsa_user_sgpr_dispatch_ptr 0
		.amdhsa_user_sgpr_queue_ptr 0
		.amdhsa_user_sgpr_kernarg_segment_ptr 1
		.amdhsa_user_sgpr_dispatch_id 0
		.amdhsa_user_sgpr_private_segment_size 0
		.amdhsa_wavefront_size32 1
		.amdhsa_uses_dynamic_stack 0
		.amdhsa_enable_private_segment 0
		.amdhsa_system_sgpr_workgroup_id_x 1
		.amdhsa_system_sgpr_workgroup_id_y 1
		.amdhsa_system_sgpr_workgroup_id_z 1
		.amdhsa_system_sgpr_workgroup_info 0
		.amdhsa_system_vgpr_workitem_id 0
		.amdhsa_next_free_vgpr 17
		.amdhsa_next_free_sgpr 40
		.amdhsa_reserve_vcc 1
		.amdhsa_float_round_mode_32 0
		.amdhsa_float_round_mode_16_64 0
		.amdhsa_float_denorm_mode_32 3
		.amdhsa_float_denorm_mode_16_64 3
		.amdhsa_dx10_clamp 1
		.amdhsa_ieee_mode 1
		.amdhsa_fp16_overflow 0
		.amdhsa_workgroup_processor_mode 1
		.amdhsa_memory_ordered 1
		.amdhsa_forward_progress 0
		.amdhsa_shared_vgpr_count 0
		.amdhsa_exception_fp_ieee_invalid_op 0
		.amdhsa_exception_fp_denorm_src 0
		.amdhsa_exception_fp_ieee_div_zero 0
		.amdhsa_exception_fp_ieee_overflow 0
		.amdhsa_exception_fp_ieee_underflow 0
		.amdhsa_exception_fp_ieee_inexact 0
		.amdhsa_exception_int_div_zero 0
	.end_amdhsa_kernel
	.section	.text._ZN2at6native12_GLOBAL__N_131replication_pad_backward_kernelIN3c104HalfEEEvN5torch10headeronly6detail27GenericPackedTensorAccessorINS7_14TensorAccessorINS3_8ArrayRefIlEET_Lm4ENS6_16DefaultPtrTraitsElEENS_6detail16IndexBoundsCheckILm5ElEESC_Lm5ESD_lEENS8_INS9_ISB_KSC_Lm4ESD_lEESH_SJ_Lm5ESD_lEEiiiii,"axG",@progbits,_ZN2at6native12_GLOBAL__N_131replication_pad_backward_kernelIN3c104HalfEEEvN5torch10headeronly6detail27GenericPackedTensorAccessorINS7_14TensorAccessorINS3_8ArrayRefIlEET_Lm4ENS6_16DefaultPtrTraitsElEENS_6detail16IndexBoundsCheckILm5ElEESC_Lm5ESD_lEENS8_INS9_ISB_KSC_Lm4ESD_lEESH_SJ_Lm5ESD_lEEiiiii,comdat
.Lfunc_end10:
	.size	_ZN2at6native12_GLOBAL__N_131replication_pad_backward_kernelIN3c104HalfEEEvN5torch10headeronly6detail27GenericPackedTensorAccessorINS7_14TensorAccessorINS3_8ArrayRefIlEET_Lm4ENS6_16DefaultPtrTraitsElEENS_6detail16IndexBoundsCheckILm5ElEESC_Lm5ESD_lEENS8_INS9_ISB_KSC_Lm4ESD_lEESH_SJ_Lm5ESD_lEEiiiii, .Lfunc_end10-_ZN2at6native12_GLOBAL__N_131replication_pad_backward_kernelIN3c104HalfEEEvN5torch10headeronly6detail27GenericPackedTensorAccessorINS7_14TensorAccessorINS3_8ArrayRefIlEET_Lm4ENS6_16DefaultPtrTraitsElEENS_6detail16IndexBoundsCheckILm5ElEESC_Lm5ESD_lEENS8_INS9_ISB_KSC_Lm4ESD_lEESH_SJ_Lm5ESD_lEEiiiii
                                        ; -- End function
	.section	.AMDGPU.csdata,"",@progbits
; Kernel info:
; codeLenInByte = 3944
; NumSgprs: 42
; NumVgprs: 17
; ScratchSize: 0
; MemoryBound: 0
; FloatMode: 240
; IeeeMode: 1
; LDSByteSize: 0 bytes/workgroup (compile time only)
; SGPRBlocks: 5
; VGPRBlocks: 2
; NumSGPRsForWavesPerEU: 42
; NumVGPRsForWavesPerEU: 17
; Occupancy: 16
; WaveLimiterHint : 1
; COMPUTE_PGM_RSRC2:SCRATCH_EN: 0
; COMPUTE_PGM_RSRC2:USER_SGPR: 13
; COMPUTE_PGM_RSRC2:TRAP_HANDLER: 0
; COMPUTE_PGM_RSRC2:TGID_X_EN: 1
; COMPUTE_PGM_RSRC2:TGID_Y_EN: 1
; COMPUTE_PGM_RSRC2:TGID_Z_EN: 1
; COMPUTE_PGM_RSRC2:TIDIG_COMP_CNT: 0
	.section	.text._ZN2at6native12_GLOBAL__N_131replication_pad_backward_kernelIN3c108BFloat16EEEvN5torch10headeronly6detail27GenericPackedTensorAccessorINS7_14TensorAccessorINS3_8ArrayRefIlEET_Lm4ENS6_16DefaultPtrTraitsElEENS_6detail16IndexBoundsCheckILm5ElEESC_Lm5ESD_lEENS8_INS9_ISB_KSC_Lm4ESD_lEESH_SJ_Lm5ESD_lEEiiiii,"axG",@progbits,_ZN2at6native12_GLOBAL__N_131replication_pad_backward_kernelIN3c108BFloat16EEEvN5torch10headeronly6detail27GenericPackedTensorAccessorINS7_14TensorAccessorINS3_8ArrayRefIlEET_Lm4ENS6_16DefaultPtrTraitsElEENS_6detail16IndexBoundsCheckILm5ElEESC_Lm5ESD_lEENS8_INS9_ISB_KSC_Lm4ESD_lEESH_SJ_Lm5ESD_lEEiiiii,comdat
	.globl	_ZN2at6native12_GLOBAL__N_131replication_pad_backward_kernelIN3c108BFloat16EEEvN5torch10headeronly6detail27GenericPackedTensorAccessorINS7_14TensorAccessorINS3_8ArrayRefIlEET_Lm4ENS6_16DefaultPtrTraitsElEENS_6detail16IndexBoundsCheckILm5ElEESC_Lm5ESD_lEENS8_INS9_ISB_KSC_Lm4ESD_lEESH_SJ_Lm5ESD_lEEiiiii ; -- Begin function _ZN2at6native12_GLOBAL__N_131replication_pad_backward_kernelIN3c108BFloat16EEEvN5torch10headeronly6detail27GenericPackedTensorAccessorINS7_14TensorAccessorINS3_8ArrayRefIlEET_Lm4ENS6_16DefaultPtrTraitsElEENS_6detail16IndexBoundsCheckILm5ElEESC_Lm5ESD_lEENS8_INS9_ISB_KSC_Lm4ESD_lEESH_SJ_Lm5ESD_lEEiiiii
	.p2align	8
	.type	_ZN2at6native12_GLOBAL__N_131replication_pad_backward_kernelIN3c108BFloat16EEEvN5torch10headeronly6detail27GenericPackedTensorAccessorINS7_14TensorAccessorINS3_8ArrayRefIlEET_Lm4ENS6_16DefaultPtrTraitsElEENS_6detail16IndexBoundsCheckILm5ElEESC_Lm5ESD_lEENS8_INS9_ISB_KSC_Lm4ESD_lEESH_SJ_Lm5ESD_lEEiiiii,@function
_ZN2at6native12_GLOBAL__N_131replication_pad_backward_kernelIN3c108BFloat16EEEvN5torch10headeronly6detail27GenericPackedTensorAccessorINS7_14TensorAccessorINS3_8ArrayRefIlEET_Lm4ENS6_16DefaultPtrTraitsElEENS_6detail16IndexBoundsCheckILm5ElEESC_Lm5ESD_lEENS8_INS9_ISB_KSC_Lm4ESD_lEESH_SJ_Lm5ESD_lEEiiiii: ; @_ZN2at6native12_GLOBAL__N_131replication_pad_backward_kernelIN3c108BFloat16EEEvN5torch10headeronly6detail27GenericPackedTensorAccessorINS7_14TensorAccessorINS3_8ArrayRefIlEET_Lm4ENS6_16DefaultPtrTraitsElEENS_6detail16IndexBoundsCheckILm5ElEESC_Lm5ESD_lEENS8_INS9_ISB_KSC_Lm4ESD_lEESH_SJ_Lm5ESD_lEEiiiii
; %bb.0:
	s_clause 0x2
	s_load_b32 s2, s[0:1], 0xd4
	s_load_b128 s[4:7], s[0:1], 0x70
	s_load_b64 s[8:9], s[0:1], 0x80
	s_waitcnt lgkmcnt(0)
	s_and_b32 s2, s2, 0xffff
	s_delay_alu instid0(SALU_CYCLE_1)
	v_mad_u64_u32 v[1:2], null, s13, s2, v[0:1]
	s_mul_i32 s10, s8, s7
	s_mul_hi_u32 s11, s8, s6
	s_mul_i32 s2, s9, s6
	s_mul_i32 s3, s8, s6
	s_add_i32 s12, s11, s10
	s_mul_i32 s5, s3, s5
	s_mul_hi_u32 s10, s3, s4
	s_add_i32 s12, s12, s2
	v_ashrrev_i32_e32 v2, 31, v1
	s_add_i32 s2, s10, s5
	s_mul_i32 s5, s12, s4
	s_mul_i32 s4, s3, s4
	s_add_i32 s5, s2, s5
	s_mov_b32 s2, exec_lo
	v_cmpx_gt_i64_e64 s[4:5], v[1:2]
	s_cbranch_execz .LBB11_19
; %bb.1:
	v_or_b32_e32 v4, s9, v2
	v_mov_b32_e32 v3, 0
	s_delay_alu instid0(VALU_DEP_1) | instskip(SKIP_1) | instid1(SALU_CYCLE_1)
	v_cmp_ne_u64_e32 vcc_lo, 0, v[3:4]
                                        ; implicit-def: $vgpr3_vgpr4
	s_and_saveexec_b32 s2, vcc_lo
	s_xor_b32 s13, exec_lo, s2
	s_cbranch_execz .LBB11_3
; %bb.2:
	s_ashr_i32 s4, s9, 31
	s_delay_alu instid0(SALU_CYCLE_1) | instskip(SKIP_2) | instid1(SALU_CYCLE_1)
	s_add_u32 s10, s8, s4
	s_mov_b32 s5, s4
	s_addc_u32 s11, s9, s4
	s_xor_b64 s[10:11], s[10:11], s[4:5]
	s_delay_alu instid0(SALU_CYCLE_1) | instskip(SKIP_3) | instid1(VALU_DEP_1)
	v_cvt_f32_u32_e32 v0, s10
	v_cvt_f32_u32_e32 v3, s11
	s_sub_u32 s2, 0, s10
	s_subb_u32 s5, 0, s11
	v_fmamk_f32 v0, v3, 0x4f800000, v0
	s_delay_alu instid0(VALU_DEP_1) | instskip(SKIP_2) | instid1(VALU_DEP_1)
	v_rcp_f32_e32 v0, v0
	s_waitcnt_depctr 0xfff
	v_mul_f32_e32 v0, 0x5f7ffffc, v0
	v_mul_f32_e32 v3, 0x2f800000, v0
	s_delay_alu instid0(VALU_DEP_1) | instskip(NEXT) | instid1(VALU_DEP_1)
	v_trunc_f32_e32 v3, v3
	v_fmamk_f32 v0, v3, 0xcf800000, v0
	v_cvt_u32_f32_e32 v3, v3
	s_delay_alu instid0(VALU_DEP_2) | instskip(NEXT) | instid1(VALU_DEP_2)
	v_cvt_u32_f32_e32 v0, v0
	v_mul_lo_u32 v4, s2, v3
	s_delay_alu instid0(VALU_DEP_2) | instskip(SKIP_1) | instid1(VALU_DEP_2)
	v_mul_hi_u32 v5, s2, v0
	v_mul_lo_u32 v6, s5, v0
	v_add_nc_u32_e32 v4, v5, v4
	v_mul_lo_u32 v5, s2, v0
	s_delay_alu instid0(VALU_DEP_2) | instskip(NEXT) | instid1(VALU_DEP_2)
	v_add_nc_u32_e32 v4, v4, v6
	v_mul_hi_u32 v6, v0, v5
	s_delay_alu instid0(VALU_DEP_2)
	v_mul_lo_u32 v7, v0, v4
	v_mul_hi_u32 v8, v0, v4
	v_mul_hi_u32 v9, v3, v5
	v_mul_lo_u32 v5, v3, v5
	v_mul_hi_u32 v10, v3, v4
	v_mul_lo_u32 v4, v3, v4
	v_add_co_u32 v6, vcc_lo, v6, v7
	v_add_co_ci_u32_e32 v7, vcc_lo, 0, v8, vcc_lo
	s_delay_alu instid0(VALU_DEP_2) | instskip(NEXT) | instid1(VALU_DEP_2)
	v_add_co_u32 v5, vcc_lo, v6, v5
	v_add_co_ci_u32_e32 v5, vcc_lo, v7, v9, vcc_lo
	v_add_co_ci_u32_e32 v6, vcc_lo, 0, v10, vcc_lo
	v_ashrrev_i32_e32 v9, 31, v2
	s_delay_alu instid0(VALU_DEP_3) | instskip(NEXT) | instid1(VALU_DEP_3)
	v_add_co_u32 v4, vcc_lo, v5, v4
	v_add_co_ci_u32_e32 v5, vcc_lo, 0, v6, vcc_lo
	s_delay_alu instid0(VALU_DEP_2) | instskip(NEXT) | instid1(VALU_DEP_2)
	v_add_co_u32 v0, vcc_lo, v0, v4
	v_add_co_ci_u32_e32 v3, vcc_lo, v3, v5, vcc_lo
	s_delay_alu instid0(VALU_DEP_2) | instskip(SKIP_1) | instid1(VALU_DEP_3)
	v_mul_hi_u32 v4, s2, v0
	v_mul_lo_u32 v6, s5, v0
	v_mul_lo_u32 v5, s2, v3
	s_delay_alu instid0(VALU_DEP_1) | instskip(SKIP_1) | instid1(VALU_DEP_2)
	v_add_nc_u32_e32 v4, v4, v5
	v_mul_lo_u32 v5, s2, v0
	v_add_nc_u32_e32 v4, v4, v6
	s_delay_alu instid0(VALU_DEP_2) | instskip(NEXT) | instid1(VALU_DEP_2)
	v_mul_hi_u32 v6, v0, v5
	v_mul_lo_u32 v7, v0, v4
	v_mul_hi_u32 v8, v0, v4
	v_mul_hi_u32 v10, v3, v5
	v_mul_lo_u32 v5, v3, v5
	v_mul_hi_u32 v11, v3, v4
	v_mul_lo_u32 v4, v3, v4
	v_add_co_u32 v6, vcc_lo, v6, v7
	v_add_co_ci_u32_e32 v7, vcc_lo, 0, v8, vcc_lo
	s_delay_alu instid0(VALU_DEP_2) | instskip(NEXT) | instid1(VALU_DEP_2)
	v_add_co_u32 v5, vcc_lo, v6, v5
	v_add_co_ci_u32_e32 v5, vcc_lo, v7, v10, vcc_lo
	v_add_co_ci_u32_e32 v6, vcc_lo, 0, v11, vcc_lo
	v_add_co_u32 v7, vcc_lo, v1, v9
	v_add_co_ci_u32_e32 v8, vcc_lo, v2, v9, vcc_lo
	s_delay_alu instid0(VALU_DEP_4) | instskip(NEXT) | instid1(VALU_DEP_4)
	v_add_co_u32 v4, vcc_lo, v5, v4
	v_add_co_ci_u32_e32 v5, vcc_lo, 0, v6, vcc_lo
	s_delay_alu instid0(VALU_DEP_4) | instskip(NEXT) | instid1(VALU_DEP_3)
	v_xor_b32_e32 v10, v7, v9
	v_add_co_u32 v0, vcc_lo, v0, v4
	s_delay_alu instid0(VALU_DEP_3) | instskip(SKIP_1) | instid1(VALU_DEP_3)
	v_add_co_ci_u32_e32 v11, vcc_lo, v3, v5, vcc_lo
	v_xor_b32_e32 v12, v8, v9
	v_mul_hi_u32 v13, v10, v0
	s_delay_alu instid0(VALU_DEP_3) | instskip(NEXT) | instid1(VALU_DEP_3)
	v_mad_u64_u32 v[3:4], null, v10, v11, 0
	v_mad_u64_u32 v[5:6], null, v12, v0, 0
	;; [unrolled: 1-line block ×3, first 2 shown]
	s_delay_alu instid0(VALU_DEP_3) | instskip(NEXT) | instid1(VALU_DEP_4)
	v_add_co_u32 v0, vcc_lo, v13, v3
	v_add_co_ci_u32_e32 v3, vcc_lo, 0, v4, vcc_lo
	s_delay_alu instid0(VALU_DEP_2) | instskip(NEXT) | instid1(VALU_DEP_2)
	v_add_co_u32 v0, vcc_lo, v0, v5
	v_add_co_ci_u32_e32 v0, vcc_lo, v3, v6, vcc_lo
	v_add_co_ci_u32_e32 v3, vcc_lo, 0, v8, vcc_lo
	s_delay_alu instid0(VALU_DEP_2) | instskip(NEXT) | instid1(VALU_DEP_2)
	v_add_co_u32 v0, vcc_lo, v0, v7
	v_add_co_ci_u32_e32 v5, vcc_lo, 0, v3, vcc_lo
	s_delay_alu instid0(VALU_DEP_2) | instskip(SKIP_1) | instid1(VALU_DEP_3)
	v_mul_lo_u32 v6, s11, v0
	v_mad_u64_u32 v[3:4], null, s10, v0, 0
	v_mul_lo_u32 v7, s10, v5
	s_delay_alu instid0(VALU_DEP_2) | instskip(NEXT) | instid1(VALU_DEP_2)
	v_sub_co_u32 v3, vcc_lo, v10, v3
	v_add3_u32 v4, v4, v7, v6
	s_delay_alu instid0(VALU_DEP_1) | instskip(NEXT) | instid1(VALU_DEP_1)
	v_sub_nc_u32_e32 v6, v12, v4
	v_subrev_co_ci_u32_e64 v6, s2, s11, v6, vcc_lo
	v_add_co_u32 v7, s2, v0, 2
	s_delay_alu instid0(VALU_DEP_1) | instskip(SKIP_3) | instid1(VALU_DEP_3)
	v_add_co_ci_u32_e64 v8, s2, 0, v5, s2
	v_sub_co_u32 v10, s2, v3, s10
	v_sub_co_ci_u32_e32 v4, vcc_lo, v12, v4, vcc_lo
	v_subrev_co_ci_u32_e64 v6, s2, 0, v6, s2
	v_cmp_le_u32_e32 vcc_lo, s10, v10
	s_delay_alu instid0(VALU_DEP_3) | instskip(SKIP_1) | instid1(VALU_DEP_4)
	v_cmp_eq_u32_e64 s2, s11, v4
	v_cndmask_b32_e64 v10, 0, -1, vcc_lo
	v_cmp_le_u32_e32 vcc_lo, s11, v6
	v_cndmask_b32_e64 v11, 0, -1, vcc_lo
	v_cmp_le_u32_e32 vcc_lo, s10, v3
	;; [unrolled: 2-line block ×3, first 2 shown]
	v_cndmask_b32_e64 v12, 0, -1, vcc_lo
	v_cmp_eq_u32_e32 vcc_lo, s11, v6
	s_delay_alu instid0(VALU_DEP_2) | instskip(SKIP_3) | instid1(VALU_DEP_3)
	v_cndmask_b32_e64 v3, v12, v3, s2
	v_cndmask_b32_e32 v6, v11, v10, vcc_lo
	v_add_co_u32 v10, vcc_lo, v0, 1
	v_add_co_ci_u32_e32 v11, vcc_lo, 0, v5, vcc_lo
	v_cmp_ne_u32_e32 vcc_lo, 0, v6
	s_delay_alu instid0(VALU_DEP_2) | instskip(NEXT) | instid1(VALU_DEP_4)
	v_cndmask_b32_e32 v4, v11, v8, vcc_lo
	v_cndmask_b32_e32 v6, v10, v7, vcc_lo
	v_cmp_ne_u32_e32 vcc_lo, 0, v3
	v_xor_b32_e32 v7, s4, v9
	s_delay_alu instid0(VALU_DEP_3) | instskip(NEXT) | instid1(VALU_DEP_1)
	v_dual_cndmask_b32 v0, v0, v6 :: v_dual_cndmask_b32 v3, v5, v4
	v_xor_b32_e32 v0, v0, v7
	s_delay_alu instid0(VALU_DEP_2) | instskip(NEXT) | instid1(VALU_DEP_2)
	v_xor_b32_e32 v4, v3, v7
	v_sub_co_u32 v3, vcc_lo, v0, v7
	s_delay_alu instid0(VALU_DEP_2)
	v_sub_co_ci_u32_e32 v4, vcc_lo, v4, v7, vcc_lo
.LBB11_3:
	s_and_not1_saveexec_b32 s2, s13
	s_cbranch_execz .LBB11_5
; %bb.4:
	v_cvt_f32_u32_e32 v0, s8
	s_sub_i32 s4, 0, s8
	s_delay_alu instid0(VALU_DEP_1) | instskip(SKIP_2) | instid1(VALU_DEP_1)
	v_rcp_iflag_f32_e32 v0, v0
	s_waitcnt_depctr 0xfff
	v_mul_f32_e32 v0, 0x4f7ffffe, v0
	v_cvt_u32_f32_e32 v0, v0
	s_delay_alu instid0(VALU_DEP_1) | instskip(NEXT) | instid1(VALU_DEP_1)
	v_mul_lo_u32 v3, s4, v0
	v_mul_hi_u32 v3, v0, v3
	s_delay_alu instid0(VALU_DEP_1) | instskip(NEXT) | instid1(VALU_DEP_1)
	v_add_nc_u32_e32 v0, v0, v3
	v_mul_hi_u32 v0, v1, v0
	s_delay_alu instid0(VALU_DEP_1) | instskip(SKIP_1) | instid1(VALU_DEP_2)
	v_mul_lo_u32 v3, v0, s8
	v_add_nc_u32_e32 v4, 1, v0
	v_sub_nc_u32_e32 v3, v1, v3
	s_delay_alu instid0(VALU_DEP_1) | instskip(SKIP_1) | instid1(VALU_DEP_2)
	v_subrev_nc_u32_e32 v5, s8, v3
	v_cmp_le_u32_e32 vcc_lo, s8, v3
	v_dual_cndmask_b32 v3, v3, v5 :: v_dual_cndmask_b32 v0, v0, v4
	s_delay_alu instid0(VALU_DEP_1) | instskip(NEXT) | instid1(VALU_DEP_2)
	v_cmp_le_u32_e32 vcc_lo, s8, v3
	v_add_nc_u32_e32 v4, 1, v0
	s_delay_alu instid0(VALU_DEP_1)
	v_dual_cndmask_b32 v3, v0, v4 :: v_dual_mov_b32 v4, 0
.LBB11_5:
	s_or_b32 exec_lo, exec_lo, s2
	s_delay_alu instid0(VALU_DEP_1) | instskip(SKIP_1) | instid1(VALU_DEP_1)
	v_or_b32_e32 v6, s7, v4
	v_mov_b32_e32 v5, 0
	v_cmp_ne_u64_e32 vcc_lo, 0, v[5:6]
                                        ; implicit-def: $vgpr5_vgpr6
	s_and_saveexec_b32 s2, vcc_lo
	s_delay_alu instid0(SALU_CYCLE_1)
	s_xor_b32 s10, exec_lo, s2
	s_cbranch_execz .LBB11_7
; %bb.6:
	s_ashr_i32 s4, s7, 31
	s_delay_alu instid0(SALU_CYCLE_1) | instskip(SKIP_2) | instid1(SALU_CYCLE_1)
	s_add_u32 s16, s6, s4
	s_mov_b32 s5, s4
	s_addc_u32 s17, s7, s4
	s_xor_b64 s[4:5], s[16:17], s[4:5]
	s_delay_alu instid0(SALU_CYCLE_1) | instskip(SKIP_3) | instid1(VALU_DEP_1)
	v_cvt_f32_u32_e32 v0, s4
	v_cvt_f32_u32_e32 v5, s5
	s_sub_u32 s2, 0, s4
	s_subb_u32 s7, 0, s5
	v_fmamk_f32 v0, v5, 0x4f800000, v0
	s_delay_alu instid0(VALU_DEP_1) | instskip(SKIP_2) | instid1(VALU_DEP_1)
	v_rcp_f32_e32 v0, v0
	s_waitcnt_depctr 0xfff
	v_mul_f32_e32 v0, 0x5f7ffffc, v0
	v_mul_f32_e32 v5, 0x2f800000, v0
	s_delay_alu instid0(VALU_DEP_1) | instskip(NEXT) | instid1(VALU_DEP_1)
	v_trunc_f32_e32 v5, v5
	v_fmamk_f32 v0, v5, 0xcf800000, v0
	v_cvt_u32_f32_e32 v5, v5
	s_delay_alu instid0(VALU_DEP_2) | instskip(NEXT) | instid1(VALU_DEP_2)
	v_cvt_u32_f32_e32 v0, v0
	v_mul_lo_u32 v6, s2, v5
	s_delay_alu instid0(VALU_DEP_2) | instskip(SKIP_1) | instid1(VALU_DEP_2)
	v_mul_hi_u32 v7, s2, v0
	v_mul_lo_u32 v8, s7, v0
	v_add_nc_u32_e32 v6, v7, v6
	v_mul_lo_u32 v7, s2, v0
	s_delay_alu instid0(VALU_DEP_2) | instskip(NEXT) | instid1(VALU_DEP_2)
	v_add_nc_u32_e32 v6, v6, v8
	v_mul_hi_u32 v8, v0, v7
	s_delay_alu instid0(VALU_DEP_2)
	v_mul_lo_u32 v9, v0, v6
	v_mul_hi_u32 v10, v0, v6
	v_mul_hi_u32 v11, v5, v7
	v_mul_lo_u32 v7, v5, v7
	v_mul_hi_u32 v12, v5, v6
	v_mul_lo_u32 v6, v5, v6
	v_add_co_u32 v8, vcc_lo, v8, v9
	v_add_co_ci_u32_e32 v9, vcc_lo, 0, v10, vcc_lo
	s_delay_alu instid0(VALU_DEP_2) | instskip(NEXT) | instid1(VALU_DEP_2)
	v_add_co_u32 v7, vcc_lo, v8, v7
	v_add_co_ci_u32_e32 v7, vcc_lo, v9, v11, vcc_lo
	v_add_co_ci_u32_e32 v8, vcc_lo, 0, v12, vcc_lo
	v_ashrrev_i32_e32 v11, 31, v4
	s_delay_alu instid0(VALU_DEP_3) | instskip(NEXT) | instid1(VALU_DEP_3)
	v_add_co_u32 v6, vcc_lo, v7, v6
	v_add_co_ci_u32_e32 v7, vcc_lo, 0, v8, vcc_lo
	s_delay_alu instid0(VALU_DEP_2) | instskip(NEXT) | instid1(VALU_DEP_2)
	v_add_co_u32 v0, vcc_lo, v0, v6
	v_add_co_ci_u32_e32 v5, vcc_lo, v5, v7, vcc_lo
	s_delay_alu instid0(VALU_DEP_2) | instskip(SKIP_1) | instid1(VALU_DEP_3)
	v_mul_hi_u32 v6, s2, v0
	v_mul_lo_u32 v8, s7, v0
	v_mul_lo_u32 v7, s2, v5
	s_delay_alu instid0(VALU_DEP_1) | instskip(SKIP_1) | instid1(VALU_DEP_2)
	v_add_nc_u32_e32 v6, v6, v7
	v_mul_lo_u32 v7, s2, v0
	v_add_nc_u32_e32 v6, v6, v8
	s_delay_alu instid0(VALU_DEP_2) | instskip(NEXT) | instid1(VALU_DEP_2)
	v_mul_hi_u32 v8, v0, v7
	v_mul_lo_u32 v9, v0, v6
	v_mul_hi_u32 v10, v0, v6
	v_mul_hi_u32 v12, v5, v7
	v_mul_lo_u32 v7, v5, v7
	v_mul_hi_u32 v13, v5, v6
	v_mul_lo_u32 v6, v5, v6
	v_add_co_u32 v8, vcc_lo, v8, v9
	v_add_co_ci_u32_e32 v9, vcc_lo, 0, v10, vcc_lo
	s_delay_alu instid0(VALU_DEP_2) | instskip(NEXT) | instid1(VALU_DEP_2)
	v_add_co_u32 v7, vcc_lo, v8, v7
	v_add_co_ci_u32_e32 v7, vcc_lo, v9, v12, vcc_lo
	v_add_co_ci_u32_e32 v8, vcc_lo, 0, v13, vcc_lo
	v_add_co_u32 v9, vcc_lo, v3, v11
	v_add_co_ci_u32_e32 v10, vcc_lo, v4, v11, vcc_lo
	s_delay_alu instid0(VALU_DEP_4) | instskip(NEXT) | instid1(VALU_DEP_4)
	v_add_co_u32 v6, vcc_lo, v7, v6
	v_add_co_ci_u32_e32 v7, vcc_lo, 0, v8, vcc_lo
	s_delay_alu instid0(VALU_DEP_4) | instskip(NEXT) | instid1(VALU_DEP_3)
	v_xor_b32_e32 v12, v9, v11
	v_add_co_u32 v0, vcc_lo, v0, v6
	s_delay_alu instid0(VALU_DEP_3) | instskip(SKIP_1) | instid1(VALU_DEP_3)
	v_add_co_ci_u32_e32 v13, vcc_lo, v5, v7, vcc_lo
	v_xor_b32_e32 v14, v10, v11
	v_mul_hi_u32 v15, v12, v0
	s_delay_alu instid0(VALU_DEP_3) | instskip(NEXT) | instid1(VALU_DEP_3)
	v_mad_u64_u32 v[5:6], null, v12, v13, 0
	v_mad_u64_u32 v[7:8], null, v14, v0, 0
	;; [unrolled: 1-line block ×3, first 2 shown]
	s_delay_alu instid0(VALU_DEP_3) | instskip(NEXT) | instid1(VALU_DEP_4)
	v_add_co_u32 v0, vcc_lo, v15, v5
	v_add_co_ci_u32_e32 v5, vcc_lo, 0, v6, vcc_lo
	s_delay_alu instid0(VALU_DEP_2) | instskip(NEXT) | instid1(VALU_DEP_2)
	v_add_co_u32 v0, vcc_lo, v0, v7
	v_add_co_ci_u32_e32 v0, vcc_lo, v5, v8, vcc_lo
	v_add_co_ci_u32_e32 v5, vcc_lo, 0, v10, vcc_lo
	s_delay_alu instid0(VALU_DEP_2) | instskip(NEXT) | instid1(VALU_DEP_2)
	v_add_co_u32 v0, vcc_lo, v0, v9
	v_add_co_ci_u32_e32 v7, vcc_lo, 0, v5, vcc_lo
	s_delay_alu instid0(VALU_DEP_2) | instskip(SKIP_1) | instid1(VALU_DEP_3)
	v_mul_lo_u32 v8, s5, v0
	v_mad_u64_u32 v[5:6], null, s4, v0, 0
	v_mul_lo_u32 v0, s4, v7
	s_delay_alu instid0(VALU_DEP_2) | instskip(NEXT) | instid1(VALU_DEP_2)
	v_sub_co_u32 v5, vcc_lo, v12, v5
	v_add3_u32 v0, v6, v0, v8
	s_delay_alu instid0(VALU_DEP_1) | instskip(NEXT) | instid1(VALU_DEP_1)
	v_sub_nc_u32_e32 v6, v14, v0
	v_subrev_co_ci_u32_e64 v6, s2, s5, v6, vcc_lo
	s_delay_alu instid0(VALU_DEP_4) | instskip(SKIP_1) | instid1(VALU_DEP_3)
	v_sub_co_u32 v7, s2, v5, s4
	v_sub_co_ci_u32_e32 v0, vcc_lo, v14, v0, vcc_lo
	v_subrev_co_ci_u32_e64 v6, s2, 0, v6, s2
	s_delay_alu instid0(VALU_DEP_3) | instskip(SKIP_1) | instid1(VALU_DEP_3)
	v_cmp_le_u32_e32 vcc_lo, s4, v7
	v_cndmask_b32_e64 v8, 0, -1, vcc_lo
	v_cmp_le_u32_e32 vcc_lo, s5, v6
	v_cndmask_b32_e64 v9, 0, -1, vcc_lo
	;; [unrolled: 2-line block ×4, first 2 shown]
	v_cmp_eq_u32_e32 vcc_lo, s5, v6
	v_cndmask_b32_e32 v6, v9, v8, vcc_lo
	v_sub_co_u32 v8, vcc_lo, v7, s4
	v_cmp_eq_u32_e32 vcc_lo, s5, v0
	v_cndmask_b32_e32 v0, v12, v10, vcc_lo
	s_delay_alu instid0(VALU_DEP_4) | instskip(NEXT) | instid1(VALU_DEP_4)
	v_cmp_ne_u32_e32 vcc_lo, 0, v6
	v_cndmask_b32_e32 v6, v7, v8, vcc_lo
	s_delay_alu instid0(VALU_DEP_3) | instskip(NEXT) | instid1(VALU_DEP_2)
	v_cmp_ne_u32_e32 vcc_lo, 0, v0
	v_cndmask_b32_e32 v0, v5, v6, vcc_lo
	s_delay_alu instid0(VALU_DEP_1) | instskip(NEXT) | instid1(VALU_DEP_1)
	v_xor_b32_e32 v0, v0, v11
	v_sub_co_u32 v5, vcc_lo, v0, v11
.LBB11_7:
	s_and_not1_saveexec_b32 s2, s10
	s_cbranch_execz .LBB11_9
; %bb.8:
	v_cvt_f32_u32_e32 v0, s6
	s_sub_i32 s4, 0, s6
	s_delay_alu instid0(VALU_DEP_1) | instskip(SKIP_2) | instid1(VALU_DEP_1)
	v_rcp_iflag_f32_e32 v0, v0
	s_waitcnt_depctr 0xfff
	v_mul_f32_e32 v0, 0x4f7ffffe, v0
	v_cvt_u32_f32_e32 v0, v0
	s_delay_alu instid0(VALU_DEP_1) | instskip(NEXT) | instid1(VALU_DEP_1)
	v_mul_lo_u32 v5, s4, v0
	v_mul_hi_u32 v5, v0, v5
	s_delay_alu instid0(VALU_DEP_1) | instskip(NEXT) | instid1(VALU_DEP_1)
	v_add_nc_u32_e32 v0, v0, v5
	v_mul_hi_u32 v0, v3, v0
	s_delay_alu instid0(VALU_DEP_1) | instskip(NEXT) | instid1(VALU_DEP_1)
	v_mul_lo_u32 v0, v0, s6
	v_sub_nc_u32_e32 v0, v3, v0
	s_delay_alu instid0(VALU_DEP_1) | instskip(SKIP_1) | instid1(VALU_DEP_2)
	v_subrev_nc_u32_e32 v5, s6, v0
	v_cmp_le_u32_e32 vcc_lo, s6, v0
	v_cndmask_b32_e32 v0, v0, v5, vcc_lo
	s_delay_alu instid0(VALU_DEP_1) | instskip(SKIP_1) | instid1(VALU_DEP_2)
	v_subrev_nc_u32_e32 v5, s6, v0
	v_cmp_le_u32_e32 vcc_lo, s6, v0
	v_cndmask_b32_e32 v5, v0, v5, vcc_lo
.LBB11_9:
	s_or_b32 exec_lo, exec_lo, s2
	v_or_b32_e32 v7, s12, v2
	v_mov_b32_e32 v6, 0
	s_delay_alu instid0(VALU_DEP_1) | instskip(SKIP_1) | instid1(SALU_CYCLE_1)
	v_cmp_ne_u64_e32 vcc_lo, 0, v[6:7]
                                        ; implicit-def: $vgpr6_vgpr7
	s_and_saveexec_b32 s2, vcc_lo
	s_xor_b32 s10, exec_lo, s2
	s_cbranch_execz .LBB11_11
; %bb.10:
	s_ashr_i32 s4, s12, 31
	s_delay_alu instid0(SALU_CYCLE_1) | instskip(SKIP_2) | instid1(SALU_CYCLE_1)
	s_add_u32 s6, s3, s4
	s_mov_b32 s5, s4
	s_addc_u32 s7, s12, s4
	s_xor_b64 s[6:7], s[6:7], s[4:5]
	s_delay_alu instid0(SALU_CYCLE_1) | instskip(SKIP_3) | instid1(VALU_DEP_1)
	v_cvt_f32_u32_e32 v0, s6
	v_cvt_f32_u32_e32 v6, s7
	s_sub_u32 s2, 0, s6
	s_subb_u32 s5, 0, s7
	v_fmamk_f32 v0, v6, 0x4f800000, v0
	s_delay_alu instid0(VALU_DEP_1) | instskip(SKIP_2) | instid1(VALU_DEP_1)
	v_rcp_f32_e32 v0, v0
	s_waitcnt_depctr 0xfff
	v_mul_f32_e32 v0, 0x5f7ffffc, v0
	v_mul_f32_e32 v6, 0x2f800000, v0
	s_delay_alu instid0(VALU_DEP_1) | instskip(NEXT) | instid1(VALU_DEP_1)
	v_trunc_f32_e32 v6, v6
	v_fmamk_f32 v0, v6, 0xcf800000, v0
	v_cvt_u32_f32_e32 v6, v6
	s_delay_alu instid0(VALU_DEP_2) | instskip(NEXT) | instid1(VALU_DEP_2)
	v_cvt_u32_f32_e32 v0, v0
	v_mul_lo_u32 v7, s2, v6
	s_delay_alu instid0(VALU_DEP_2) | instskip(SKIP_1) | instid1(VALU_DEP_2)
	v_mul_hi_u32 v8, s2, v0
	v_mul_lo_u32 v9, s5, v0
	v_add_nc_u32_e32 v7, v8, v7
	v_mul_lo_u32 v8, s2, v0
	s_delay_alu instid0(VALU_DEP_2) | instskip(NEXT) | instid1(VALU_DEP_2)
	v_add_nc_u32_e32 v7, v7, v9
	v_mul_hi_u32 v9, v0, v8
	s_delay_alu instid0(VALU_DEP_2)
	v_mul_lo_u32 v10, v0, v7
	v_mul_hi_u32 v11, v0, v7
	v_mul_hi_u32 v12, v6, v8
	v_mul_lo_u32 v8, v6, v8
	v_mul_hi_u32 v13, v6, v7
	v_mul_lo_u32 v7, v6, v7
	v_add_co_u32 v9, vcc_lo, v9, v10
	v_add_co_ci_u32_e32 v10, vcc_lo, 0, v11, vcc_lo
	s_delay_alu instid0(VALU_DEP_2) | instskip(NEXT) | instid1(VALU_DEP_2)
	v_add_co_u32 v8, vcc_lo, v9, v8
	v_add_co_ci_u32_e32 v8, vcc_lo, v10, v12, vcc_lo
	v_add_co_ci_u32_e32 v9, vcc_lo, 0, v13, vcc_lo
	v_mov_b32_e32 v12, v2
	s_delay_alu instid0(VALU_DEP_3) | instskip(NEXT) | instid1(VALU_DEP_3)
	v_add_co_u32 v7, vcc_lo, v8, v7
	v_add_co_ci_u32_e32 v8, vcc_lo, 0, v9, vcc_lo
	v_mov_b32_e32 v13, v2
	s_delay_alu instid0(VALU_DEP_3) | instskip(NEXT) | instid1(VALU_DEP_3)
	v_add_co_u32 v0, vcc_lo, v0, v7
	v_add_co_ci_u32_e32 v6, vcc_lo, v6, v8, vcc_lo
	s_delay_alu instid0(VALU_DEP_2) | instskip(SKIP_1) | instid1(VALU_DEP_3)
	v_mul_hi_u32 v7, s2, v0
	v_mul_lo_u32 v9, s5, v0
	v_mul_lo_u32 v8, s2, v6
	s_delay_alu instid0(VALU_DEP_1) | instskip(SKIP_1) | instid1(VALU_DEP_2)
	v_add_nc_u32_e32 v7, v7, v8
	v_mul_lo_u32 v8, s2, v0
	v_add_nc_u32_e32 v7, v7, v9
	s_delay_alu instid0(VALU_DEP_2) | instskip(NEXT) | instid1(VALU_DEP_2)
	v_mul_hi_u32 v9, v0, v8
	v_mul_lo_u32 v10, v0, v7
	v_mul_hi_u32 v11, v0, v7
	v_mul_hi_u32 v14, v6, v8
	v_mul_lo_u32 v8, v6, v8
	v_mul_hi_u32 v15, v6, v7
	v_mul_lo_u32 v7, v6, v7
	v_add_co_u32 v9, vcc_lo, v9, v10
	v_add_co_ci_u32_e32 v10, vcc_lo, 0, v11, vcc_lo
	s_delay_alu instid0(VALU_DEP_2) | instskip(NEXT) | instid1(VALU_DEP_2)
	v_add_co_u32 v8, vcc_lo, v9, v8
	v_add_co_ci_u32_e32 v8, vcc_lo, v10, v14, vcc_lo
	v_add_co_ci_u32_e32 v9, vcc_lo, 0, v15, vcc_lo
	v_add_co_u32 v10, vcc_lo, v1, v12
	v_add_co_ci_u32_e32 v11, vcc_lo, v2, v13, vcc_lo
	s_delay_alu instid0(VALU_DEP_4) | instskip(NEXT) | instid1(VALU_DEP_4)
	v_add_co_u32 v7, vcc_lo, v8, v7
	v_add_co_ci_u32_e32 v8, vcc_lo, 0, v9, vcc_lo
	s_delay_alu instid0(VALU_DEP_4) | instskip(NEXT) | instid1(VALU_DEP_3)
	v_xor_b32_e32 v14, v10, v12
	v_add_co_u32 v0, vcc_lo, v0, v7
	s_delay_alu instid0(VALU_DEP_3) | instskip(SKIP_1) | instid1(VALU_DEP_3)
	v_add_co_ci_u32_e32 v15, vcc_lo, v6, v8, vcc_lo
	v_xor_b32_e32 v13, v11, v13
	v_mul_hi_u32 v16, v14, v0
	s_delay_alu instid0(VALU_DEP_3) | instskip(NEXT) | instid1(VALU_DEP_3)
	v_mad_u64_u32 v[6:7], null, v14, v15, 0
	v_mad_u64_u32 v[8:9], null, v13, v0, 0
	;; [unrolled: 1-line block ×3, first 2 shown]
	s_delay_alu instid0(VALU_DEP_3) | instskip(NEXT) | instid1(VALU_DEP_4)
	v_add_co_u32 v0, vcc_lo, v16, v6
	v_add_co_ci_u32_e32 v6, vcc_lo, 0, v7, vcc_lo
	s_delay_alu instid0(VALU_DEP_2) | instskip(NEXT) | instid1(VALU_DEP_2)
	v_add_co_u32 v0, vcc_lo, v0, v8
	v_add_co_ci_u32_e32 v0, vcc_lo, v6, v9, vcc_lo
	v_add_co_ci_u32_e32 v6, vcc_lo, 0, v11, vcc_lo
	s_delay_alu instid0(VALU_DEP_2) | instskip(NEXT) | instid1(VALU_DEP_2)
	v_add_co_u32 v0, vcc_lo, v0, v10
	v_add_co_ci_u32_e32 v8, vcc_lo, 0, v6, vcc_lo
	s_delay_alu instid0(VALU_DEP_2) | instskip(SKIP_1) | instid1(VALU_DEP_3)
	v_mul_lo_u32 v9, s7, v0
	v_mad_u64_u32 v[6:7], null, s6, v0, 0
	v_mul_lo_u32 v8, s6, v8
	s_delay_alu instid0(VALU_DEP_2) | instskip(NEXT) | instid1(VALU_DEP_2)
	v_sub_co_u32 v6, vcc_lo, v14, v6
	v_add3_u32 v7, v7, v8, v9
	v_add_co_u32 v9, s2, v0, 2
	s_delay_alu instid0(VALU_DEP_2) | instskip(NEXT) | instid1(VALU_DEP_1)
	v_sub_nc_u32_e32 v8, v13, v7
	v_subrev_co_ci_u32_e64 v8, s2, s7, v8, vcc_lo
	v_sub_co_u32 v10, s2, v6, s6
	v_sub_co_ci_u32_e32 v7, vcc_lo, v13, v7, vcc_lo
	s_delay_alu instid0(VALU_DEP_3) | instskip(NEXT) | instid1(VALU_DEP_3)
	v_subrev_co_ci_u32_e64 v8, s2, 0, v8, s2
	v_cmp_le_u32_e32 vcc_lo, s6, v10
	v_cndmask_b32_e64 v10, 0, -1, vcc_lo
	s_delay_alu instid0(VALU_DEP_3)
	v_cmp_le_u32_e32 vcc_lo, s7, v8
	v_cndmask_b32_e64 v11, 0, -1, vcc_lo
	v_cmp_le_u32_e32 vcc_lo, s6, v6
	v_cndmask_b32_e64 v6, 0, -1, vcc_lo
	;; [unrolled: 2-line block ×3, first 2 shown]
	v_cmp_eq_u32_e32 vcc_lo, s7, v8
	v_cndmask_b32_e32 v8, v11, v10, vcc_lo
	v_add_co_u32 v10, vcc_lo, v0, 1
	v_cmp_eq_u32_e32 vcc_lo, s7, v7
	v_cndmask_b32_e32 v6, v13, v6, vcc_lo
	s_delay_alu instid0(VALU_DEP_4) | instskip(NEXT) | instid1(VALU_DEP_4)
	v_cmp_ne_u32_e32 vcc_lo, 0, v8
	v_cndmask_b32_e32 v7, v10, v9, vcc_lo
	s_delay_alu instid0(VALU_DEP_3) | instskip(SKIP_1) | instid1(VALU_DEP_3)
	v_cmp_ne_u32_e32 vcc_lo, 0, v6
	v_xor_b32_e32 v6, s4, v12
	v_cndmask_b32_e32 v0, v0, v7, vcc_lo
	s_delay_alu instid0(VALU_DEP_1) | instskip(NEXT) | instid1(VALU_DEP_1)
	v_xor_b32_e32 v0, v0, v6
	v_sub_co_u32 v6, vcc_lo, v0, v6
.LBB11_11:
	s_and_not1_saveexec_b32 s2, s10
	s_cbranch_execz .LBB11_13
; %bb.12:
	v_cvt_f32_u32_e32 v0, s3
	s_sub_i32 s4, 0, s3
	s_delay_alu instid0(VALU_DEP_1) | instskip(SKIP_2) | instid1(VALU_DEP_1)
	v_rcp_iflag_f32_e32 v0, v0
	s_waitcnt_depctr 0xfff
	v_mul_f32_e32 v0, 0x4f7ffffe, v0
	v_cvt_u32_f32_e32 v0, v0
	s_delay_alu instid0(VALU_DEP_1) | instskip(NEXT) | instid1(VALU_DEP_1)
	v_mul_lo_u32 v6, s4, v0
	v_mul_hi_u32 v6, v0, v6
	s_delay_alu instid0(VALU_DEP_1) | instskip(NEXT) | instid1(VALU_DEP_1)
	v_add_nc_u32_e32 v0, v0, v6
	v_mul_hi_u32 v0, v1, v0
	s_delay_alu instid0(VALU_DEP_1) | instskip(SKIP_1) | instid1(VALU_DEP_2)
	v_mul_lo_u32 v6, v0, s3
	v_add_nc_u32_e32 v7, 1, v0
	v_sub_nc_u32_e32 v6, v1, v6
	s_delay_alu instid0(VALU_DEP_1) | instskip(SKIP_1) | instid1(VALU_DEP_2)
	v_subrev_nc_u32_e32 v8, s3, v6
	v_cmp_le_u32_e32 vcc_lo, s3, v6
	v_cndmask_b32_e32 v6, v6, v8, vcc_lo
	v_cndmask_b32_e32 v0, v0, v7, vcc_lo
	s_delay_alu instid0(VALU_DEP_2) | instskip(NEXT) | instid1(VALU_DEP_2)
	v_cmp_le_u32_e32 vcc_lo, s3, v6
	v_add_nc_u32_e32 v7, 1, v0
	s_delay_alu instid0(VALU_DEP_1)
	v_cndmask_b32_e32 v6, v0, v7, vcc_lo
.LBB11_13:
	s_or_b32 exec_lo, exec_lo, s2
	s_clause 0x3
	s_load_b32 s12, s[0:1], 0xc0
	s_load_b128 s[36:39], s[0:1], 0xb0
	s_load_b512 s[16:31], s[0:1], 0x18
	s_load_b64 s[2:3], s[0:1], 0xa8
	v_mul_lo_u32 v0, v4, s8
	v_mul_lo_u32 v4, v3, s9
	v_mad_u64_u32 v[7:8], null, v3, s8, 0
	s_load_b256 s[4:11], s[0:1], 0x88
	v_ashrrev_i32_e32 v10, 31, v5
	s_delay_alu instid0(VALU_DEP_2) | instskip(NEXT) | instid1(VALU_DEP_3)
	v_add3_u32 v0, v8, v4, v0
	v_sub_co_u32 v4, vcc_lo, v1, v7
	v_ashrrev_i32_e32 v1, 31, v6
	s_delay_alu instid0(VALU_DEP_3)
	v_sub_co_ci_u32_e32 v7, vcc_lo, v2, v0, vcc_lo
	s_waitcnt lgkmcnt(0)
	s_add_i32 s15, s15, s12
	s_sub_i32 s12, 0, s38
	s_sub_i32 s13, 0, s37
	s_max_i32 s21, s12, 0
	s_max_i32 s33, s13, 0
	s_load_b64 s[12:13], s[0:1], 0x58
	s_add_i32 s20, s38, s20
	s_max_i32 s19, s38, 0
	s_add_i32 s20, s20, -1
	s_sub_i32 s19, s21, s19
	v_maxmin_i32 v0, s38, v4, s20
	s_ashr_i32 s20, s15, 31
	s_mul_hi_u32 s38, s4, s15
	s_mul_i32 s21, s4, s20
	s_mul_i32 s5, s5, s15
	s_add_i32 s21, s38, s21
	v_add_nc_u32_e32 v8, s19, v0
	v_mul_lo_u32 v2, s9, v6
	v_mul_lo_u32 v3, s8, v1
	v_mad_u64_u32 v[0:1], null, s8, v6, 0
	s_sub_i32 s17, 0, s36
	s_add_i32 s5, s21, s5
	s_mul_i32 s4, s4, s15
	s_max_i32 s17, s17, 0
	s_max_i32 s34, s37, 0
	;; [unrolled: 1-line block ×3, first 2 shown]
	s_add_i32 s18, s37, s18
	s_add_i32 s16, s36, s16
	s_lshl_b64 s[4:5], s[4:5], 1
	s_add_i32 s14, s14, s39
	s_add_i32 s18, s18, -1
	s_sub_i32 s33, s33, s34
	s_add_i32 s16, s16, -1
	s_sub_i32 s17, s17, s35
	s_waitcnt lgkmcnt(0)
	s_add_u32 s12, s12, s4
	s_addc_u32 s13, s13, s5
	s_ashr_i32 s21, s14, 31
	v_add3_u32 v1, v1, v3, v2
	v_mul_lo_u32 v11, s11, v5
	v_mul_lo_u32 v10, s10, v10
	v_mad_u64_u32 v[2:3], null, s10, v5, 0
	s_mul_i32 s4, s6, s21
	s_mul_hi_u32 s5, s6, s14
	v_lshlrev_b64 v[0:1], 1, v[0:1]
	s_add_i32 s4, s5, s4
	s_mul_i32 s5, s7, s14
	v_maxmin_i32 v6, s36, v6, s16
	s_add_i32 s5, s4, s5
	s_mul_i32 s4, s6, s14
	v_add3_u32 v3, v3, v10, v11
	s_lshl_b64 s[4:5], s[4:5], 1
	v_maxmin_i32 v9, s37, v5, s18
	s_add_u32 s4, s12, s4
	v_add_nc_u32_e32 v5, s17, v6
	s_addc_u32 s5, s13, s5
	v_add_co_u32 v6, vcc_lo, s4, v0
	s_load_b64 s[0:1], s[0:1], 0x0
	v_add_co_ci_u32_e32 v10, vcc_lo, s5, v1, vcc_lo
	v_lshlrev_b64 v[0:1], 1, v[2:3]
	v_mul_lo_u32 v11, s3, v4
	v_mul_lo_u32 v7, s2, v7
	v_mad_u64_u32 v[2:3], null, s2, v4, 0
	v_add_nc_u32_e32 v9, s33, v9
	v_add_co_u32 v12, vcc_lo, v6, v0
	v_ashrrev_i32_e32 v0, 31, v5
	v_add_co_ci_u32_e32 v10, vcc_lo, v10, v1, vcc_lo
	v_add3_u32 v3, v3, v7, v11
	v_ashrrev_i32_e32 v4, 31, v9
	s_delay_alu instid0(VALU_DEP_4)
	v_mul_lo_u32 v6, s26, v0
	v_mul_lo_u32 v7, s27, v5
	v_mad_u64_u32 v[0:1], null, s26, v5, 0
	s_mul_i32 s3, s22, s20
	s_mul_hi_u32 s4, s22, s15
	s_mul_i32 s2, s22, s15
	s_add_i32 s3, s4, s3
	s_mul_i32 s4, s23, s15
	v_mul_lo_u32 v11, s28, v4
	s_add_i32 s3, s3, s4
	v_mul_lo_u32 v13, s29, v9
	v_ashrrev_i32_e32 v14, 31, v8
	v_mad_u64_u32 v[4:5], null, s28, v9, 0
	s_lshl_b64 s[2:3], s[2:3], 1
	v_add3_u32 v1, v1, v6, v7
	s_waitcnt lgkmcnt(0)
	s_add_u32 s2, s0, s2
	s_mul_i32 s0, s24, s21
	s_mul_hi_u32 s4, s24, s14
	v_mul_lo_u32 v9, s30, v14
	v_mul_lo_u32 v14, s31, v8
	v_mad_u64_u32 v[6:7], null, s30, v8, 0
	s_addc_u32 s3, s1, s3
	s_add_i32 s0, s4, s0
	s_mul_i32 s1, s25, s14
	v_add3_u32 v5, v5, v11, v13
	s_add_i32 s1, s0, s1
	s_mul_i32 s0, s24, s14
	v_lshlrev_b64 v[0:1], 1, v[0:1]
	s_lshl_b64 s[0:1], s[0:1], 1
	v_lshlrev_b64 v[4:5], 1, v[4:5]
	s_add_u32 s0, s2, s0
	v_add3_u32 v7, v7, v9, v14
	s_addc_u32 s1, s3, s1
	v_add_co_u32 v8, vcc_lo, s0, v0
	v_add_co_ci_u32_e32 v9, vcc_lo, s1, v1, vcc_lo
	s_delay_alu instid0(VALU_DEP_3) | instskip(NEXT) | instid1(VALU_DEP_3)
	v_lshlrev_b64 v[0:1], 1, v[6:7]
	v_add_co_u32 v4, vcc_lo, v8, v4
	v_lshlrev_b64 v[2:3], 1, v[2:3]
	s_delay_alu instid0(VALU_DEP_4) | instskip(NEXT) | instid1(VALU_DEP_3)
	v_add_co_ci_u32_e32 v5, vcc_lo, v9, v5, vcc_lo
	v_add_co_u32 v4, vcc_lo, v4, v0
	s_mov_b32 s2, 0
	s_delay_alu instid0(VALU_DEP_3) | instskip(NEXT) | instid1(VALU_DEP_1)
	v_add_co_u32 v2, s0, v12, v2
	v_add_co_ci_u32_e64 v3, s0, v10, v3, s0
	v_add_co_ci_u32_e32 v1, vcc_lo, v5, v1, vcc_lo
	v_dual_mov_b32 v5, 0 :: v_dual_and_b32 v0, -3, v4
	global_load_u16 v2, v[2:3], off
	global_load_b32 v3, v[0:1], off
	v_and_b32_e32 v4, 2, v4
	s_delay_alu instid0(VALU_DEP_1)
	v_cmp_eq_u64_e32 vcc_lo, 0, v[4:5]
	v_cmp_ne_u32_e64 s0, 0, v4
	s_waitcnt vmcnt(1)
	v_lshlrev_b32_e32 v4, 16, v2
	s_set_inst_prefetch_distance 0x1
	s_branch .LBB11_15
	.p2align	6
.LBB11_14:                              ;   in Loop: Header=BB11_15 Depth=1
	s_or_b32 exec_lo, exec_lo, s1
	global_atomic_cmpswap_b32 v2, v[0:1], v[2:3], off glc
	s_waitcnt vmcnt(0)
	v_cmp_eq_u32_e64 s1, v3, v2
	v_mov_b32_e32 v3, v2
	s_delay_alu instid0(VALU_DEP_2) | instskip(NEXT) | instid1(SALU_CYCLE_1)
	s_or_b32 s2, s1, s2
	s_and_not1_b32 exec_lo, exec_lo, s2
	s_cbranch_execz .LBB11_19
.LBB11_15:                              ; =>This Inner Loop Header: Depth=1
	s_waitcnt vmcnt(0)
	v_lshrrev_b32_e32 v2, 16, v3
	s_delay_alu instid0(VALU_DEP_1) | instskip(NEXT) | instid1(VALU_DEP_1)
	v_cndmask_b32_e32 v2, v2, v3, vcc_lo
	v_lshlrev_b32_e32 v2, 16, v2
	s_delay_alu instid0(VALU_DEP_1) | instskip(NEXT) | instid1(VALU_DEP_1)
	v_add_f32_e32 v2, v4, v2
	v_bfe_u32 v5, v2, 16, 1
	v_cmp_o_f32_e64 s1, v2, v2
	s_delay_alu instid0(VALU_DEP_2) | instskip(NEXT) | instid1(VALU_DEP_1)
	v_add3_u32 v5, v2, v5, 0x7fff
	v_lshrrev_b32_e32 v5, 16, v5
	s_delay_alu instid0(VALU_DEP_1) | instskip(SKIP_1) | instid1(SALU_CYCLE_1)
	v_cndmask_b32_e64 v5, 0x7fc0, v5, s1
	s_and_saveexec_b32 s1, s0
	s_xor_b32 s1, exec_lo, s1
; %bb.16:                               ;   in Loop: Header=BB11_15 Depth=1
	v_and_b32_e32 v2, 0xffff, v3
	s_delay_alu instid0(VALU_DEP_1)
	v_lshl_or_b32 v2, v5, 16, v2
                                        ; implicit-def: $vgpr5
; %bb.17:                               ;   in Loop: Header=BB11_15 Depth=1
	s_and_not1_saveexec_b32 s1, s1
	s_cbranch_execz .LBB11_14
; %bb.18:                               ;   in Loop: Header=BB11_15 Depth=1
	v_and_or_b32 v2, 0xffff0000, v3, v5
	s_branch .LBB11_14
.LBB11_19:
	s_set_inst_prefetch_distance 0x2
	s_endpgm
	.section	.rodata,"a",@progbits
	.p2align	6, 0x0
	.amdhsa_kernel _ZN2at6native12_GLOBAL__N_131replication_pad_backward_kernelIN3c108BFloat16EEEvN5torch10headeronly6detail27GenericPackedTensorAccessorINS7_14TensorAccessorINS3_8ArrayRefIlEET_Lm4ENS6_16DefaultPtrTraitsElEENS_6detail16IndexBoundsCheckILm5ElEESC_Lm5ESD_lEENS8_INS9_ISB_KSC_Lm4ESD_lEESH_SJ_Lm5ESD_lEEiiiii
		.amdhsa_group_segment_fixed_size 0
		.amdhsa_private_segment_fixed_size 0
		.amdhsa_kernarg_size 456
		.amdhsa_user_sgpr_count 13
		.amdhsa_user_sgpr_dispatch_ptr 0
		.amdhsa_user_sgpr_queue_ptr 0
		.amdhsa_user_sgpr_kernarg_segment_ptr 1
		.amdhsa_user_sgpr_dispatch_id 0
		.amdhsa_user_sgpr_private_segment_size 0
		.amdhsa_wavefront_size32 1
		.amdhsa_uses_dynamic_stack 0
		.amdhsa_enable_private_segment 0
		.amdhsa_system_sgpr_workgroup_id_x 1
		.amdhsa_system_sgpr_workgroup_id_y 1
		.amdhsa_system_sgpr_workgroup_id_z 1
		.amdhsa_system_sgpr_workgroup_info 0
		.amdhsa_system_vgpr_workitem_id 0
		.amdhsa_next_free_vgpr 17
		.amdhsa_next_free_sgpr 40
		.amdhsa_reserve_vcc 1
		.amdhsa_float_round_mode_32 0
		.amdhsa_float_round_mode_16_64 0
		.amdhsa_float_denorm_mode_32 3
		.amdhsa_float_denorm_mode_16_64 3
		.amdhsa_dx10_clamp 1
		.amdhsa_ieee_mode 1
		.amdhsa_fp16_overflow 0
		.amdhsa_workgroup_processor_mode 1
		.amdhsa_memory_ordered 1
		.amdhsa_forward_progress 0
		.amdhsa_shared_vgpr_count 0
		.amdhsa_exception_fp_ieee_invalid_op 0
		.amdhsa_exception_fp_denorm_src 0
		.amdhsa_exception_fp_ieee_div_zero 0
		.amdhsa_exception_fp_ieee_overflow 0
		.amdhsa_exception_fp_ieee_underflow 0
		.amdhsa_exception_fp_ieee_inexact 0
		.amdhsa_exception_int_div_zero 0
	.end_amdhsa_kernel
	.section	.text._ZN2at6native12_GLOBAL__N_131replication_pad_backward_kernelIN3c108BFloat16EEEvN5torch10headeronly6detail27GenericPackedTensorAccessorINS7_14TensorAccessorINS3_8ArrayRefIlEET_Lm4ENS6_16DefaultPtrTraitsElEENS_6detail16IndexBoundsCheckILm5ElEESC_Lm5ESD_lEENS8_INS9_ISB_KSC_Lm4ESD_lEESH_SJ_Lm5ESD_lEEiiiii,"axG",@progbits,_ZN2at6native12_GLOBAL__N_131replication_pad_backward_kernelIN3c108BFloat16EEEvN5torch10headeronly6detail27GenericPackedTensorAccessorINS7_14TensorAccessorINS3_8ArrayRefIlEET_Lm4ENS6_16DefaultPtrTraitsElEENS_6detail16IndexBoundsCheckILm5ElEESC_Lm5ESD_lEENS8_INS9_ISB_KSC_Lm4ESD_lEESH_SJ_Lm5ESD_lEEiiiii,comdat
.Lfunc_end11:
	.size	_ZN2at6native12_GLOBAL__N_131replication_pad_backward_kernelIN3c108BFloat16EEEvN5torch10headeronly6detail27GenericPackedTensorAccessorINS7_14TensorAccessorINS3_8ArrayRefIlEET_Lm4ENS6_16DefaultPtrTraitsElEENS_6detail16IndexBoundsCheckILm5ElEESC_Lm5ESD_lEENS8_INS9_ISB_KSC_Lm4ESD_lEESH_SJ_Lm5ESD_lEEiiiii, .Lfunc_end11-_ZN2at6native12_GLOBAL__N_131replication_pad_backward_kernelIN3c108BFloat16EEEvN5torch10headeronly6detail27GenericPackedTensorAccessorINS7_14TensorAccessorINS3_8ArrayRefIlEET_Lm4ENS6_16DefaultPtrTraitsElEENS_6detail16IndexBoundsCheckILm5ElEESC_Lm5ESD_lEENS8_INS9_ISB_KSC_Lm4ESD_lEESH_SJ_Lm5ESD_lEEiiiii
                                        ; -- End function
	.section	.AMDGPU.csdata,"",@progbits
; Kernel info:
; codeLenInByte = 4000
; NumSgprs: 42
; NumVgprs: 17
; ScratchSize: 0
; MemoryBound: 0
; FloatMode: 240
; IeeeMode: 1
; LDSByteSize: 0 bytes/workgroup (compile time only)
; SGPRBlocks: 5
; VGPRBlocks: 2
; NumSGPRsForWavesPerEU: 42
; NumVGPRsForWavesPerEU: 17
; Occupancy: 16
; WaveLimiterHint : 1
; COMPUTE_PGM_RSRC2:SCRATCH_EN: 0
; COMPUTE_PGM_RSRC2:USER_SGPR: 13
; COMPUTE_PGM_RSRC2:TRAP_HANDLER: 0
; COMPUTE_PGM_RSRC2:TGID_X_EN: 1
; COMPUTE_PGM_RSRC2:TGID_Y_EN: 1
; COMPUTE_PGM_RSRC2:TGID_Z_EN: 1
; COMPUTE_PGM_RSRC2:TIDIG_COMP_CNT: 0
	.section	.text._ZN2at6native12_GLOBAL__N_132replication_pad_forward_kernel1dIhEEvN5torch10headeronly6detail27GenericPackedTensorAccessorINS5_14TensorAccessorIN3c108ArrayRefIlEEKT_Lm2ENS4_16DefaultPtrTraitsElEENS_6detail16IndexBoundsCheckILm3ElEESC_Lm3ESD_lEENS6_INS7_ISA_SB_Lm2ESD_lEESH_SB_Lm3ESD_lEEiii,"axG",@progbits,_ZN2at6native12_GLOBAL__N_132replication_pad_forward_kernel1dIhEEvN5torch10headeronly6detail27GenericPackedTensorAccessorINS5_14TensorAccessorIN3c108ArrayRefIlEEKT_Lm2ENS4_16DefaultPtrTraitsElEENS_6detail16IndexBoundsCheckILm3ElEESC_Lm3ESD_lEENS6_INS7_ISA_SB_Lm2ESD_lEESH_SB_Lm3ESD_lEEiii,comdat
	.globl	_ZN2at6native12_GLOBAL__N_132replication_pad_forward_kernel1dIhEEvN5torch10headeronly6detail27GenericPackedTensorAccessorINS5_14TensorAccessorIN3c108ArrayRefIlEEKT_Lm2ENS4_16DefaultPtrTraitsElEENS_6detail16IndexBoundsCheckILm3ElEESC_Lm3ESD_lEENS6_INS7_ISA_SB_Lm2ESD_lEESH_SB_Lm3ESD_lEEiii ; -- Begin function _ZN2at6native12_GLOBAL__N_132replication_pad_forward_kernel1dIhEEvN5torch10headeronly6detail27GenericPackedTensorAccessorINS5_14TensorAccessorIN3c108ArrayRefIlEEKT_Lm2ENS4_16DefaultPtrTraitsElEENS_6detail16IndexBoundsCheckILm3ElEESC_Lm3ESD_lEENS6_INS7_ISA_SB_Lm2ESD_lEESH_SB_Lm3ESD_lEEiii
	.p2align	8
	.type	_ZN2at6native12_GLOBAL__N_132replication_pad_forward_kernel1dIhEEvN5torch10headeronly6detail27GenericPackedTensorAccessorINS5_14TensorAccessorIN3c108ArrayRefIlEEKT_Lm2ENS4_16DefaultPtrTraitsElEENS_6detail16IndexBoundsCheckILm3ElEESC_Lm3ESD_lEENS6_INS7_ISA_SB_Lm2ESD_lEESH_SB_Lm3ESD_lEEiii,@function
_ZN2at6native12_GLOBAL__N_132replication_pad_forward_kernel1dIhEEvN5torch10headeronly6detail27GenericPackedTensorAccessorINS5_14TensorAccessorIN3c108ArrayRefIlEEKT_Lm2ENS4_16DefaultPtrTraitsElEENS_6detail16IndexBoundsCheckILm3ElEESC_Lm3ESD_lEENS6_INS7_ISA_SB_Lm2ESD_lEESH_SB_Lm3ESD_lEEiii: ; @_ZN2at6native12_GLOBAL__N_132replication_pad_forward_kernel1dIhEEvN5torch10headeronly6detail27GenericPackedTensorAccessorINS5_14TensorAccessorIN3c108ArrayRefIlEEKT_Lm2ENS4_16DefaultPtrTraitsElEENS_6detail16IndexBoundsCheckILm3ElEESC_Lm3ESD_lEENS6_INS7_ISA_SB_Lm2ESD_lEESH_SB_Lm3ESD_lEEiii
; %bb.0:
	s_clause 0x1
	s_load_b32 s2, s[0:1], 0x8c
	s_load_b64 s[4:5], s[0:1], 0x50
	v_mov_b32_e32 v4, 0
	s_delay_alu instid0(VALU_DEP_1)
	v_mov_b32_e32 v1, v4
	s_waitcnt lgkmcnt(0)
	s_and_b32 s2, s2, 0xffff
	s_delay_alu instid0(VALU_DEP_1) | instid1(SALU_CYCLE_1)
	v_mad_u64_u32 v[2:3], null, s2, s13, v[0:1]
	s_mov_b32 s2, exec_lo
	s_delay_alu instid0(VALU_DEP_1)
	v_cmpx_gt_i64_e64 s[4:5], v[2:3]
	s_cbranch_execz .LBB12_6
; %bb.1:
	v_or_b32_e32 v5, s5, v3
                                        ; implicit-def: $vgpr0_vgpr1
	s_mov_b32 s2, exec_lo
	s_delay_alu instid0(VALU_DEP_1)
	v_cmpx_ne_u64_e32 0, v[4:5]
	s_xor_b32 s3, exec_lo, s2
	s_cbranch_execz .LBB12_3
; %bb.2:
	v_cvt_f32_u32_e32 v0, s4
	v_cvt_f32_u32_e32 v1, s5
	s_sub_u32 s2, 0, s4
	s_subb_u32 s6, 0, s5
	s_delay_alu instid0(VALU_DEP_1) | instskip(NEXT) | instid1(VALU_DEP_1)
	v_fmamk_f32 v0, v1, 0x4f800000, v0
	v_rcp_f32_e32 v0, v0
	s_waitcnt_depctr 0xfff
	v_mul_f32_e32 v0, 0x5f7ffffc, v0
	s_delay_alu instid0(VALU_DEP_1) | instskip(NEXT) | instid1(VALU_DEP_1)
	v_mul_f32_e32 v1, 0x2f800000, v0
	v_trunc_f32_e32 v1, v1
	s_delay_alu instid0(VALU_DEP_1) | instskip(SKIP_1) | instid1(VALU_DEP_2)
	v_fmamk_f32 v0, v1, 0xcf800000, v0
	v_cvt_u32_f32_e32 v1, v1
	v_cvt_u32_f32_e32 v0, v0
	s_delay_alu instid0(VALU_DEP_2) | instskip(NEXT) | instid1(VALU_DEP_2)
	v_mul_lo_u32 v4, s2, v1
	v_mul_hi_u32 v5, s2, v0
	v_mul_lo_u32 v6, s6, v0
	s_delay_alu instid0(VALU_DEP_2) | instskip(SKIP_1) | instid1(VALU_DEP_2)
	v_add_nc_u32_e32 v4, v5, v4
	v_mul_lo_u32 v5, s2, v0
	v_add_nc_u32_e32 v4, v4, v6
	s_delay_alu instid0(VALU_DEP_2) | instskip(NEXT) | instid1(VALU_DEP_2)
	v_mul_hi_u32 v6, v0, v5
	v_mul_lo_u32 v7, v0, v4
	v_mul_hi_u32 v8, v0, v4
	v_mul_hi_u32 v9, v1, v5
	v_mul_lo_u32 v5, v1, v5
	v_mul_hi_u32 v10, v1, v4
	v_mul_lo_u32 v4, v1, v4
	v_add_co_u32 v6, vcc_lo, v6, v7
	v_add_co_ci_u32_e32 v7, vcc_lo, 0, v8, vcc_lo
	s_delay_alu instid0(VALU_DEP_2) | instskip(NEXT) | instid1(VALU_DEP_2)
	v_add_co_u32 v5, vcc_lo, v6, v5
	v_add_co_ci_u32_e32 v5, vcc_lo, v7, v9, vcc_lo
	v_add_co_ci_u32_e32 v6, vcc_lo, 0, v10, vcc_lo
	s_delay_alu instid0(VALU_DEP_2) | instskip(NEXT) | instid1(VALU_DEP_2)
	v_add_co_u32 v4, vcc_lo, v5, v4
	v_add_co_ci_u32_e32 v5, vcc_lo, 0, v6, vcc_lo
	s_delay_alu instid0(VALU_DEP_2) | instskip(NEXT) | instid1(VALU_DEP_2)
	v_add_co_u32 v0, vcc_lo, v0, v4
	v_add_co_ci_u32_e32 v1, vcc_lo, v1, v5, vcc_lo
	s_delay_alu instid0(VALU_DEP_2) | instskip(SKIP_1) | instid1(VALU_DEP_3)
	v_mul_hi_u32 v4, s2, v0
	v_mul_lo_u32 v6, s6, v0
	v_mul_lo_u32 v5, s2, v1
	s_delay_alu instid0(VALU_DEP_1) | instskip(SKIP_1) | instid1(VALU_DEP_2)
	v_add_nc_u32_e32 v4, v4, v5
	v_mul_lo_u32 v5, s2, v0
	v_add_nc_u32_e32 v4, v4, v6
	s_delay_alu instid0(VALU_DEP_2) | instskip(NEXT) | instid1(VALU_DEP_2)
	v_mul_hi_u32 v6, v0, v5
	v_mul_lo_u32 v7, v0, v4
	v_mul_hi_u32 v8, v0, v4
	v_mul_hi_u32 v9, v1, v5
	v_mul_lo_u32 v5, v1, v5
	v_mul_hi_u32 v10, v1, v4
	v_mul_lo_u32 v4, v1, v4
	v_add_co_u32 v6, vcc_lo, v6, v7
	v_add_co_ci_u32_e32 v7, vcc_lo, 0, v8, vcc_lo
	s_delay_alu instid0(VALU_DEP_2) | instskip(NEXT) | instid1(VALU_DEP_2)
	v_add_co_u32 v5, vcc_lo, v6, v5
	v_add_co_ci_u32_e32 v5, vcc_lo, v7, v9, vcc_lo
	v_add_co_ci_u32_e32 v6, vcc_lo, 0, v10, vcc_lo
	s_delay_alu instid0(VALU_DEP_2) | instskip(NEXT) | instid1(VALU_DEP_2)
	v_add_co_u32 v4, vcc_lo, v5, v4
	v_add_co_ci_u32_e32 v5, vcc_lo, 0, v6, vcc_lo
	s_delay_alu instid0(VALU_DEP_2) | instskip(NEXT) | instid1(VALU_DEP_2)
	v_add_co_u32 v6, vcc_lo, v0, v4
	v_add_co_ci_u32_e32 v8, vcc_lo, v1, v5, vcc_lo
	s_delay_alu instid0(VALU_DEP_2) | instskip(SKIP_1) | instid1(VALU_DEP_3)
	v_mul_hi_u32 v9, v2, v6
	v_mad_u64_u32 v[4:5], null, v3, v6, 0
	v_mad_u64_u32 v[0:1], null, v2, v8, 0
	;; [unrolled: 1-line block ×3, first 2 shown]
	s_delay_alu instid0(VALU_DEP_2) | instskip(NEXT) | instid1(VALU_DEP_3)
	v_add_co_u32 v0, vcc_lo, v9, v0
	v_add_co_ci_u32_e32 v1, vcc_lo, 0, v1, vcc_lo
	s_delay_alu instid0(VALU_DEP_2) | instskip(NEXT) | instid1(VALU_DEP_2)
	v_add_co_u32 v0, vcc_lo, v0, v4
	v_add_co_ci_u32_e32 v0, vcc_lo, v1, v5, vcc_lo
	v_add_co_ci_u32_e32 v1, vcc_lo, 0, v7, vcc_lo
	s_delay_alu instid0(VALU_DEP_2) | instskip(NEXT) | instid1(VALU_DEP_2)
	v_add_co_u32 v4, vcc_lo, v0, v6
	v_add_co_ci_u32_e32 v5, vcc_lo, 0, v1, vcc_lo
	s_delay_alu instid0(VALU_DEP_2) | instskip(SKIP_1) | instid1(VALU_DEP_3)
	v_mul_lo_u32 v6, s5, v4
	v_mad_u64_u32 v[0:1], null, s4, v4, 0
	v_mul_lo_u32 v4, s4, v5
	s_delay_alu instid0(VALU_DEP_2) | instskip(NEXT) | instid1(VALU_DEP_2)
	v_sub_co_u32 v0, vcc_lo, v2, v0
	v_add3_u32 v1, v1, v4, v6
	s_delay_alu instid0(VALU_DEP_1) | instskip(NEXT) | instid1(VALU_DEP_1)
	v_sub_nc_u32_e32 v4, v3, v1
	v_subrev_co_ci_u32_e64 v2, s2, s5, v4, vcc_lo
	v_sub_co_ci_u32_e32 v1, vcc_lo, v3, v1, vcc_lo
	v_sub_co_u32 v3, vcc_lo, v0, s4
	s_delay_alu instid0(VALU_DEP_1) | instskip(SKIP_3) | instid1(VALU_DEP_3)
	v_subrev_co_ci_u32_e64 v4, s2, 0, v2, vcc_lo
	v_cmp_le_u32_e64 s2, s4, v0
	v_subrev_co_ci_u32_e32 v2, vcc_lo, s5, v2, vcc_lo
	v_cmp_le_u32_e32 vcc_lo, s5, v1
	v_cndmask_b32_e64 v5, 0, -1, s2
	v_cmp_le_u32_e64 s2, s4, v3
	v_cndmask_b32_e64 v8, 0, -1, vcc_lo
	v_cmp_eq_u32_e32 vcc_lo, s5, v4
	s_delay_alu instid0(VALU_DEP_3) | instskip(SKIP_1) | instid1(VALU_DEP_1)
	v_cndmask_b32_e64 v6, 0, -1, s2
	v_cmp_le_u32_e64 s2, s5, v4
	v_cndmask_b32_e64 v7, 0, -1, s2
	v_cmp_eq_u32_e64 s2, s5, v1
	s_delay_alu instid0(VALU_DEP_2) | instskip(SKIP_2) | instid1(VALU_DEP_3)
	v_cndmask_b32_e32 v6, v7, v6, vcc_lo
	v_sub_co_u32 v7, vcc_lo, v3, s4
	v_subrev_co_ci_u32_e32 v2, vcc_lo, 0, v2, vcc_lo
	v_cmp_ne_u32_e32 vcc_lo, 0, v6
	v_cndmask_b32_e64 v5, v8, v5, s2
	s_delay_alu instid0(VALU_DEP_3) | instskip(NEXT) | instid1(VALU_DEP_2)
	v_dual_cndmask_b32 v2, v4, v2 :: v_dual_cndmask_b32 v3, v3, v7
	v_cmp_ne_u32_e32 vcc_lo, 0, v5
	s_delay_alu instid0(VALU_DEP_2)
	v_dual_cndmask_b32 v1, v1, v2 :: v_dual_cndmask_b32 v0, v0, v3
                                        ; implicit-def: $vgpr2_vgpr3
.LBB12_3:
	s_and_not1_saveexec_b32 s2, s3
	s_cbranch_execz .LBB12_5
; %bb.4:
	v_cvt_f32_u32_e32 v0, s4
	s_sub_i32 s3, 0, s4
	s_delay_alu instid0(VALU_DEP_1) | instskip(SKIP_2) | instid1(VALU_DEP_1)
	v_rcp_iflag_f32_e32 v0, v0
	s_waitcnt_depctr 0xfff
	v_mul_f32_e32 v0, 0x4f7ffffe, v0
	v_cvt_u32_f32_e32 v0, v0
	s_delay_alu instid0(VALU_DEP_1) | instskip(NEXT) | instid1(VALU_DEP_1)
	v_mul_lo_u32 v1, s3, v0
	v_mul_hi_u32 v1, v0, v1
	s_delay_alu instid0(VALU_DEP_1) | instskip(NEXT) | instid1(VALU_DEP_1)
	v_add_nc_u32_e32 v0, v0, v1
	v_mul_hi_u32 v0, v2, v0
	s_delay_alu instid0(VALU_DEP_1) | instskip(NEXT) | instid1(VALU_DEP_1)
	v_mul_lo_u32 v0, v0, s4
	v_sub_nc_u32_e32 v0, v2, v0
	s_delay_alu instid0(VALU_DEP_1) | instskip(SKIP_1) | instid1(VALU_DEP_2)
	v_subrev_nc_u32_e32 v1, s4, v0
	v_cmp_le_u32_e32 vcc_lo, s4, v0
	v_cndmask_b32_e32 v0, v0, v1, vcc_lo
	s_delay_alu instid0(VALU_DEP_1) | instskip(SKIP_1) | instid1(VALU_DEP_2)
	v_subrev_nc_u32_e32 v1, s4, v0
	v_cmp_le_u32_e32 vcc_lo, s4, v0
	v_dual_cndmask_b32 v0, v0, v1 :: v_dual_mov_b32 v1, 0
.LBB12_5:
	s_or_b32 exec_lo, exec_lo, s2
	s_clause 0x3
	s_load_b128 s[16:19], s[0:1], 0x70
	s_load_b256 s[4:11], s[0:1], 0x18
	s_load_b64 s[2:3], s[0:1], 0x0
	s_load_b64 s[12:13], s[0:1], 0x68
	s_waitcnt lgkmcnt(0)
	s_sub_i32 s5, 0, s16
	s_add_i32 s4, s16, s4
	s_add_i32 s14, s14, s17
	s_add_i32 s4, s4, -1
	s_max_i32 s17, s16, 0
	v_maxmin_i32 v2, s16, v0, s4
	s_max_i32 s5, s5, 0
	s_add_i32 s15, s15, s18
	s_sub_i32 s5, s5, s17
	s_mul_i32 s7, s7, s15
	v_add_nc_u32_e32 v4, s5, v2
	s_mul_hi_u32 s18, s6, s15
	s_mul_i32 s6, s6, s15
	s_mul_i32 s4, s9, s14
	s_mul_hi_u32 s9, s8, s14
	s_add_i32 s18, s18, s7
	s_mul_i32 s8, s8, s14
	s_add_u32 s2, s2, s6
	v_ashrrev_i32_e32 v5, 31, v4
	s_addc_u32 s3, s3, s18
	s_add_i32 s9, s9, s4
	s_add_u32 s2, s2, s8
	s_addc_u32 s3, s3, s9
	v_mul_lo_u32 v5, s10, v5
	v_mad_u64_u32 v[2:3], null, s10, v4, s[2:3]
	v_mul_lo_u32 v4, s11, v4
	v_mul_lo_u32 v1, s12, v1
	s_delay_alu instid0(VALU_DEP_2)
	v_add3_u32 v3, v4, v3, v5
	global_load_u8 v4, v[2:3], off
	s_clause 0x1
	s_load_b128 s[4:7], s[0:1], 0x58
	s_load_b64 s[0:1], s[0:1], 0x38
	s_waitcnt lgkmcnt(0)
	s_mul_i32 s2, s5, s15
	s_mul_hi_u32 s3, s4, s15
	s_mul_i32 s4, s4, s15
	s_add_i32 s3, s3, s2
	s_add_u32 s0, s0, s4
	s_addc_u32 s1, s1, s3
	s_mul_i32 s2, s7, s14
	s_mul_hi_u32 s3, s6, s14
	s_mul_i32 s4, s6, s14
	s_add_i32 s3, s3, s2
	s_add_u32 s0, s0, s4
	s_addc_u32 s1, s1, s3
	s_delay_alu instid0(SALU_CYCLE_1) | instskip(SKIP_1) | instid1(VALU_DEP_1)
	v_mad_u64_u32 v[2:3], null, s12, v0, s[0:1]
	v_mul_lo_u32 v0, s13, v0
	v_add3_u32 v3, v0, v3, v1
	s_waitcnt vmcnt(0)
	global_store_b8 v[2:3], v4, off
.LBB12_6:
	s_nop 0
	s_sendmsg sendmsg(MSG_DEALLOC_VGPRS)
	s_endpgm
	.section	.rodata,"a",@progbits
	.p2align	6, 0x0
	.amdhsa_kernel _ZN2at6native12_GLOBAL__N_132replication_pad_forward_kernel1dIhEEvN5torch10headeronly6detail27GenericPackedTensorAccessorINS5_14TensorAccessorIN3c108ArrayRefIlEEKT_Lm2ENS4_16DefaultPtrTraitsElEENS_6detail16IndexBoundsCheckILm3ElEESC_Lm3ESD_lEENS6_INS7_ISA_SB_Lm2ESD_lEESH_SB_Lm3ESD_lEEiii
		.amdhsa_group_segment_fixed_size 0
		.amdhsa_private_segment_fixed_size 0
		.amdhsa_kernarg_size 384
		.amdhsa_user_sgpr_count 13
		.amdhsa_user_sgpr_dispatch_ptr 0
		.amdhsa_user_sgpr_queue_ptr 0
		.amdhsa_user_sgpr_kernarg_segment_ptr 1
		.amdhsa_user_sgpr_dispatch_id 0
		.amdhsa_user_sgpr_private_segment_size 0
		.amdhsa_wavefront_size32 1
		.amdhsa_uses_dynamic_stack 0
		.amdhsa_enable_private_segment 0
		.amdhsa_system_sgpr_workgroup_id_x 1
		.amdhsa_system_sgpr_workgroup_id_y 1
		.amdhsa_system_sgpr_workgroup_id_z 1
		.amdhsa_system_sgpr_workgroup_info 0
		.amdhsa_system_vgpr_workitem_id 0
		.amdhsa_next_free_vgpr 11
		.amdhsa_next_free_sgpr 20
		.amdhsa_reserve_vcc 1
		.amdhsa_float_round_mode_32 0
		.amdhsa_float_round_mode_16_64 0
		.amdhsa_float_denorm_mode_32 3
		.amdhsa_float_denorm_mode_16_64 3
		.amdhsa_dx10_clamp 1
		.amdhsa_ieee_mode 1
		.amdhsa_fp16_overflow 0
		.amdhsa_workgroup_processor_mode 1
		.amdhsa_memory_ordered 1
		.amdhsa_forward_progress 0
		.amdhsa_shared_vgpr_count 0
		.amdhsa_exception_fp_ieee_invalid_op 0
		.amdhsa_exception_fp_denorm_src 0
		.amdhsa_exception_fp_ieee_div_zero 0
		.amdhsa_exception_fp_ieee_overflow 0
		.amdhsa_exception_fp_ieee_underflow 0
		.amdhsa_exception_fp_ieee_inexact 0
		.amdhsa_exception_int_div_zero 0
	.end_amdhsa_kernel
	.section	.text._ZN2at6native12_GLOBAL__N_132replication_pad_forward_kernel1dIhEEvN5torch10headeronly6detail27GenericPackedTensorAccessorINS5_14TensorAccessorIN3c108ArrayRefIlEEKT_Lm2ENS4_16DefaultPtrTraitsElEENS_6detail16IndexBoundsCheckILm3ElEESC_Lm3ESD_lEENS6_INS7_ISA_SB_Lm2ESD_lEESH_SB_Lm3ESD_lEEiii,"axG",@progbits,_ZN2at6native12_GLOBAL__N_132replication_pad_forward_kernel1dIhEEvN5torch10headeronly6detail27GenericPackedTensorAccessorINS5_14TensorAccessorIN3c108ArrayRefIlEEKT_Lm2ENS4_16DefaultPtrTraitsElEENS_6detail16IndexBoundsCheckILm3ElEESC_Lm3ESD_lEENS6_INS7_ISA_SB_Lm2ESD_lEESH_SB_Lm3ESD_lEEiii,comdat
.Lfunc_end12:
	.size	_ZN2at6native12_GLOBAL__N_132replication_pad_forward_kernel1dIhEEvN5torch10headeronly6detail27GenericPackedTensorAccessorINS5_14TensorAccessorIN3c108ArrayRefIlEEKT_Lm2ENS4_16DefaultPtrTraitsElEENS_6detail16IndexBoundsCheckILm3ElEESC_Lm3ESD_lEENS6_INS7_ISA_SB_Lm2ESD_lEESH_SB_Lm3ESD_lEEiii, .Lfunc_end12-_ZN2at6native12_GLOBAL__N_132replication_pad_forward_kernel1dIhEEvN5torch10headeronly6detail27GenericPackedTensorAccessorINS5_14TensorAccessorIN3c108ArrayRefIlEEKT_Lm2ENS4_16DefaultPtrTraitsElEENS_6detail16IndexBoundsCheckILm3ElEESC_Lm3ESD_lEENS6_INS7_ISA_SB_Lm2ESD_lEESH_SB_Lm3ESD_lEEiii
                                        ; -- End function
	.section	.AMDGPU.csdata,"",@progbits
; Kernel info:
; codeLenInByte = 1284
; NumSgprs: 22
; NumVgprs: 11
; ScratchSize: 0
; MemoryBound: 0
; FloatMode: 240
; IeeeMode: 1
; LDSByteSize: 0 bytes/workgroup (compile time only)
; SGPRBlocks: 2
; VGPRBlocks: 1
; NumSGPRsForWavesPerEU: 22
; NumVGPRsForWavesPerEU: 11
; Occupancy: 16
; WaveLimiterHint : 1
; COMPUTE_PGM_RSRC2:SCRATCH_EN: 0
; COMPUTE_PGM_RSRC2:USER_SGPR: 13
; COMPUTE_PGM_RSRC2:TRAP_HANDLER: 0
; COMPUTE_PGM_RSRC2:TGID_X_EN: 1
; COMPUTE_PGM_RSRC2:TGID_Y_EN: 1
; COMPUTE_PGM_RSRC2:TGID_Z_EN: 1
; COMPUTE_PGM_RSRC2:TIDIG_COMP_CNT: 0
	.section	.text._ZN2at6native12_GLOBAL__N_132replication_pad_forward_kernel1dIaEEvN5torch10headeronly6detail27GenericPackedTensorAccessorINS5_14TensorAccessorIN3c108ArrayRefIlEEKT_Lm2ENS4_16DefaultPtrTraitsElEENS_6detail16IndexBoundsCheckILm3ElEESC_Lm3ESD_lEENS6_INS7_ISA_SB_Lm2ESD_lEESH_SB_Lm3ESD_lEEiii,"axG",@progbits,_ZN2at6native12_GLOBAL__N_132replication_pad_forward_kernel1dIaEEvN5torch10headeronly6detail27GenericPackedTensorAccessorINS5_14TensorAccessorIN3c108ArrayRefIlEEKT_Lm2ENS4_16DefaultPtrTraitsElEENS_6detail16IndexBoundsCheckILm3ElEESC_Lm3ESD_lEENS6_INS7_ISA_SB_Lm2ESD_lEESH_SB_Lm3ESD_lEEiii,comdat
	.globl	_ZN2at6native12_GLOBAL__N_132replication_pad_forward_kernel1dIaEEvN5torch10headeronly6detail27GenericPackedTensorAccessorINS5_14TensorAccessorIN3c108ArrayRefIlEEKT_Lm2ENS4_16DefaultPtrTraitsElEENS_6detail16IndexBoundsCheckILm3ElEESC_Lm3ESD_lEENS6_INS7_ISA_SB_Lm2ESD_lEESH_SB_Lm3ESD_lEEiii ; -- Begin function _ZN2at6native12_GLOBAL__N_132replication_pad_forward_kernel1dIaEEvN5torch10headeronly6detail27GenericPackedTensorAccessorINS5_14TensorAccessorIN3c108ArrayRefIlEEKT_Lm2ENS4_16DefaultPtrTraitsElEENS_6detail16IndexBoundsCheckILm3ElEESC_Lm3ESD_lEENS6_INS7_ISA_SB_Lm2ESD_lEESH_SB_Lm3ESD_lEEiii
	.p2align	8
	.type	_ZN2at6native12_GLOBAL__N_132replication_pad_forward_kernel1dIaEEvN5torch10headeronly6detail27GenericPackedTensorAccessorINS5_14TensorAccessorIN3c108ArrayRefIlEEKT_Lm2ENS4_16DefaultPtrTraitsElEENS_6detail16IndexBoundsCheckILm3ElEESC_Lm3ESD_lEENS6_INS7_ISA_SB_Lm2ESD_lEESH_SB_Lm3ESD_lEEiii,@function
_ZN2at6native12_GLOBAL__N_132replication_pad_forward_kernel1dIaEEvN5torch10headeronly6detail27GenericPackedTensorAccessorINS5_14TensorAccessorIN3c108ArrayRefIlEEKT_Lm2ENS4_16DefaultPtrTraitsElEENS_6detail16IndexBoundsCheckILm3ElEESC_Lm3ESD_lEENS6_INS7_ISA_SB_Lm2ESD_lEESH_SB_Lm3ESD_lEEiii: ; @_ZN2at6native12_GLOBAL__N_132replication_pad_forward_kernel1dIaEEvN5torch10headeronly6detail27GenericPackedTensorAccessorINS5_14TensorAccessorIN3c108ArrayRefIlEEKT_Lm2ENS4_16DefaultPtrTraitsElEENS_6detail16IndexBoundsCheckILm3ElEESC_Lm3ESD_lEENS6_INS7_ISA_SB_Lm2ESD_lEESH_SB_Lm3ESD_lEEiii
; %bb.0:
	s_clause 0x1
	s_load_b32 s2, s[0:1], 0x8c
	s_load_b64 s[4:5], s[0:1], 0x50
	v_mov_b32_e32 v4, 0
	s_delay_alu instid0(VALU_DEP_1)
	v_mov_b32_e32 v1, v4
	s_waitcnt lgkmcnt(0)
	s_and_b32 s2, s2, 0xffff
	s_delay_alu instid0(VALU_DEP_1) | instid1(SALU_CYCLE_1)
	v_mad_u64_u32 v[2:3], null, s2, s13, v[0:1]
	s_mov_b32 s2, exec_lo
	s_delay_alu instid0(VALU_DEP_1)
	v_cmpx_gt_i64_e64 s[4:5], v[2:3]
	s_cbranch_execz .LBB13_6
; %bb.1:
	v_or_b32_e32 v5, s5, v3
                                        ; implicit-def: $vgpr0_vgpr1
	s_mov_b32 s2, exec_lo
	s_delay_alu instid0(VALU_DEP_1)
	v_cmpx_ne_u64_e32 0, v[4:5]
	s_xor_b32 s3, exec_lo, s2
	s_cbranch_execz .LBB13_3
; %bb.2:
	v_cvt_f32_u32_e32 v0, s4
	v_cvt_f32_u32_e32 v1, s5
	s_sub_u32 s2, 0, s4
	s_subb_u32 s6, 0, s5
	s_delay_alu instid0(VALU_DEP_1) | instskip(NEXT) | instid1(VALU_DEP_1)
	v_fmamk_f32 v0, v1, 0x4f800000, v0
	v_rcp_f32_e32 v0, v0
	s_waitcnt_depctr 0xfff
	v_mul_f32_e32 v0, 0x5f7ffffc, v0
	s_delay_alu instid0(VALU_DEP_1) | instskip(NEXT) | instid1(VALU_DEP_1)
	v_mul_f32_e32 v1, 0x2f800000, v0
	v_trunc_f32_e32 v1, v1
	s_delay_alu instid0(VALU_DEP_1) | instskip(SKIP_1) | instid1(VALU_DEP_2)
	v_fmamk_f32 v0, v1, 0xcf800000, v0
	v_cvt_u32_f32_e32 v1, v1
	v_cvt_u32_f32_e32 v0, v0
	s_delay_alu instid0(VALU_DEP_2) | instskip(NEXT) | instid1(VALU_DEP_2)
	v_mul_lo_u32 v4, s2, v1
	v_mul_hi_u32 v5, s2, v0
	v_mul_lo_u32 v6, s6, v0
	s_delay_alu instid0(VALU_DEP_2) | instskip(SKIP_1) | instid1(VALU_DEP_2)
	v_add_nc_u32_e32 v4, v5, v4
	v_mul_lo_u32 v5, s2, v0
	v_add_nc_u32_e32 v4, v4, v6
	s_delay_alu instid0(VALU_DEP_2) | instskip(NEXT) | instid1(VALU_DEP_2)
	v_mul_hi_u32 v6, v0, v5
	v_mul_lo_u32 v7, v0, v4
	v_mul_hi_u32 v8, v0, v4
	v_mul_hi_u32 v9, v1, v5
	v_mul_lo_u32 v5, v1, v5
	v_mul_hi_u32 v10, v1, v4
	v_mul_lo_u32 v4, v1, v4
	v_add_co_u32 v6, vcc_lo, v6, v7
	v_add_co_ci_u32_e32 v7, vcc_lo, 0, v8, vcc_lo
	s_delay_alu instid0(VALU_DEP_2) | instskip(NEXT) | instid1(VALU_DEP_2)
	v_add_co_u32 v5, vcc_lo, v6, v5
	v_add_co_ci_u32_e32 v5, vcc_lo, v7, v9, vcc_lo
	v_add_co_ci_u32_e32 v6, vcc_lo, 0, v10, vcc_lo
	s_delay_alu instid0(VALU_DEP_2) | instskip(NEXT) | instid1(VALU_DEP_2)
	v_add_co_u32 v4, vcc_lo, v5, v4
	v_add_co_ci_u32_e32 v5, vcc_lo, 0, v6, vcc_lo
	s_delay_alu instid0(VALU_DEP_2) | instskip(NEXT) | instid1(VALU_DEP_2)
	v_add_co_u32 v0, vcc_lo, v0, v4
	v_add_co_ci_u32_e32 v1, vcc_lo, v1, v5, vcc_lo
	s_delay_alu instid0(VALU_DEP_2) | instskip(SKIP_1) | instid1(VALU_DEP_3)
	v_mul_hi_u32 v4, s2, v0
	v_mul_lo_u32 v6, s6, v0
	v_mul_lo_u32 v5, s2, v1
	s_delay_alu instid0(VALU_DEP_1) | instskip(SKIP_1) | instid1(VALU_DEP_2)
	v_add_nc_u32_e32 v4, v4, v5
	v_mul_lo_u32 v5, s2, v0
	v_add_nc_u32_e32 v4, v4, v6
	s_delay_alu instid0(VALU_DEP_2) | instskip(NEXT) | instid1(VALU_DEP_2)
	v_mul_hi_u32 v6, v0, v5
	v_mul_lo_u32 v7, v0, v4
	v_mul_hi_u32 v8, v0, v4
	v_mul_hi_u32 v9, v1, v5
	v_mul_lo_u32 v5, v1, v5
	v_mul_hi_u32 v10, v1, v4
	v_mul_lo_u32 v4, v1, v4
	v_add_co_u32 v6, vcc_lo, v6, v7
	v_add_co_ci_u32_e32 v7, vcc_lo, 0, v8, vcc_lo
	s_delay_alu instid0(VALU_DEP_2) | instskip(NEXT) | instid1(VALU_DEP_2)
	v_add_co_u32 v5, vcc_lo, v6, v5
	v_add_co_ci_u32_e32 v5, vcc_lo, v7, v9, vcc_lo
	v_add_co_ci_u32_e32 v6, vcc_lo, 0, v10, vcc_lo
	s_delay_alu instid0(VALU_DEP_2) | instskip(NEXT) | instid1(VALU_DEP_2)
	v_add_co_u32 v4, vcc_lo, v5, v4
	v_add_co_ci_u32_e32 v5, vcc_lo, 0, v6, vcc_lo
	s_delay_alu instid0(VALU_DEP_2) | instskip(NEXT) | instid1(VALU_DEP_2)
	v_add_co_u32 v6, vcc_lo, v0, v4
	v_add_co_ci_u32_e32 v8, vcc_lo, v1, v5, vcc_lo
	s_delay_alu instid0(VALU_DEP_2) | instskip(SKIP_1) | instid1(VALU_DEP_3)
	v_mul_hi_u32 v9, v2, v6
	v_mad_u64_u32 v[4:5], null, v3, v6, 0
	v_mad_u64_u32 v[0:1], null, v2, v8, 0
	;; [unrolled: 1-line block ×3, first 2 shown]
	s_delay_alu instid0(VALU_DEP_2) | instskip(NEXT) | instid1(VALU_DEP_3)
	v_add_co_u32 v0, vcc_lo, v9, v0
	v_add_co_ci_u32_e32 v1, vcc_lo, 0, v1, vcc_lo
	s_delay_alu instid0(VALU_DEP_2) | instskip(NEXT) | instid1(VALU_DEP_2)
	v_add_co_u32 v0, vcc_lo, v0, v4
	v_add_co_ci_u32_e32 v0, vcc_lo, v1, v5, vcc_lo
	v_add_co_ci_u32_e32 v1, vcc_lo, 0, v7, vcc_lo
	s_delay_alu instid0(VALU_DEP_2) | instskip(NEXT) | instid1(VALU_DEP_2)
	v_add_co_u32 v4, vcc_lo, v0, v6
	v_add_co_ci_u32_e32 v5, vcc_lo, 0, v1, vcc_lo
	s_delay_alu instid0(VALU_DEP_2) | instskip(SKIP_1) | instid1(VALU_DEP_3)
	v_mul_lo_u32 v6, s5, v4
	v_mad_u64_u32 v[0:1], null, s4, v4, 0
	v_mul_lo_u32 v4, s4, v5
	s_delay_alu instid0(VALU_DEP_2) | instskip(NEXT) | instid1(VALU_DEP_2)
	v_sub_co_u32 v0, vcc_lo, v2, v0
	v_add3_u32 v1, v1, v4, v6
	s_delay_alu instid0(VALU_DEP_1) | instskip(NEXT) | instid1(VALU_DEP_1)
	v_sub_nc_u32_e32 v4, v3, v1
	v_subrev_co_ci_u32_e64 v2, s2, s5, v4, vcc_lo
	v_sub_co_ci_u32_e32 v1, vcc_lo, v3, v1, vcc_lo
	v_sub_co_u32 v3, vcc_lo, v0, s4
	s_delay_alu instid0(VALU_DEP_1) | instskip(SKIP_3) | instid1(VALU_DEP_3)
	v_subrev_co_ci_u32_e64 v4, s2, 0, v2, vcc_lo
	v_cmp_le_u32_e64 s2, s4, v0
	v_subrev_co_ci_u32_e32 v2, vcc_lo, s5, v2, vcc_lo
	v_cmp_le_u32_e32 vcc_lo, s5, v1
	v_cndmask_b32_e64 v5, 0, -1, s2
	v_cmp_le_u32_e64 s2, s4, v3
	v_cndmask_b32_e64 v8, 0, -1, vcc_lo
	v_cmp_eq_u32_e32 vcc_lo, s5, v4
	s_delay_alu instid0(VALU_DEP_3) | instskip(SKIP_1) | instid1(VALU_DEP_1)
	v_cndmask_b32_e64 v6, 0, -1, s2
	v_cmp_le_u32_e64 s2, s5, v4
	v_cndmask_b32_e64 v7, 0, -1, s2
	v_cmp_eq_u32_e64 s2, s5, v1
	s_delay_alu instid0(VALU_DEP_2) | instskip(SKIP_2) | instid1(VALU_DEP_3)
	v_cndmask_b32_e32 v6, v7, v6, vcc_lo
	v_sub_co_u32 v7, vcc_lo, v3, s4
	v_subrev_co_ci_u32_e32 v2, vcc_lo, 0, v2, vcc_lo
	v_cmp_ne_u32_e32 vcc_lo, 0, v6
	v_cndmask_b32_e64 v5, v8, v5, s2
	s_delay_alu instid0(VALU_DEP_3) | instskip(NEXT) | instid1(VALU_DEP_2)
	v_dual_cndmask_b32 v2, v4, v2 :: v_dual_cndmask_b32 v3, v3, v7
	v_cmp_ne_u32_e32 vcc_lo, 0, v5
	s_delay_alu instid0(VALU_DEP_2)
	v_dual_cndmask_b32 v1, v1, v2 :: v_dual_cndmask_b32 v0, v0, v3
                                        ; implicit-def: $vgpr2_vgpr3
.LBB13_3:
	s_and_not1_saveexec_b32 s2, s3
	s_cbranch_execz .LBB13_5
; %bb.4:
	v_cvt_f32_u32_e32 v0, s4
	s_sub_i32 s3, 0, s4
	s_delay_alu instid0(VALU_DEP_1) | instskip(SKIP_2) | instid1(VALU_DEP_1)
	v_rcp_iflag_f32_e32 v0, v0
	s_waitcnt_depctr 0xfff
	v_mul_f32_e32 v0, 0x4f7ffffe, v0
	v_cvt_u32_f32_e32 v0, v0
	s_delay_alu instid0(VALU_DEP_1) | instskip(NEXT) | instid1(VALU_DEP_1)
	v_mul_lo_u32 v1, s3, v0
	v_mul_hi_u32 v1, v0, v1
	s_delay_alu instid0(VALU_DEP_1) | instskip(NEXT) | instid1(VALU_DEP_1)
	v_add_nc_u32_e32 v0, v0, v1
	v_mul_hi_u32 v0, v2, v0
	s_delay_alu instid0(VALU_DEP_1) | instskip(NEXT) | instid1(VALU_DEP_1)
	v_mul_lo_u32 v0, v0, s4
	v_sub_nc_u32_e32 v0, v2, v0
	s_delay_alu instid0(VALU_DEP_1) | instskip(SKIP_1) | instid1(VALU_DEP_2)
	v_subrev_nc_u32_e32 v1, s4, v0
	v_cmp_le_u32_e32 vcc_lo, s4, v0
	v_cndmask_b32_e32 v0, v0, v1, vcc_lo
	s_delay_alu instid0(VALU_DEP_1) | instskip(SKIP_1) | instid1(VALU_DEP_2)
	v_subrev_nc_u32_e32 v1, s4, v0
	v_cmp_le_u32_e32 vcc_lo, s4, v0
	v_dual_cndmask_b32 v0, v0, v1 :: v_dual_mov_b32 v1, 0
.LBB13_5:
	s_or_b32 exec_lo, exec_lo, s2
	s_clause 0x3
	s_load_b128 s[16:19], s[0:1], 0x70
	s_load_b256 s[4:11], s[0:1], 0x18
	s_load_b64 s[2:3], s[0:1], 0x0
	s_load_b64 s[12:13], s[0:1], 0x68
	s_waitcnt lgkmcnt(0)
	s_sub_i32 s5, 0, s16
	s_add_i32 s4, s16, s4
	s_add_i32 s14, s14, s17
	s_add_i32 s4, s4, -1
	s_max_i32 s17, s16, 0
	v_maxmin_i32 v2, s16, v0, s4
	s_max_i32 s5, s5, 0
	s_add_i32 s15, s15, s18
	s_sub_i32 s5, s5, s17
	s_mul_i32 s7, s7, s15
	v_add_nc_u32_e32 v4, s5, v2
	s_mul_hi_u32 s18, s6, s15
	s_mul_i32 s6, s6, s15
	s_mul_i32 s4, s9, s14
	s_mul_hi_u32 s9, s8, s14
	s_add_i32 s18, s18, s7
	s_mul_i32 s8, s8, s14
	s_add_u32 s2, s2, s6
	v_ashrrev_i32_e32 v5, 31, v4
	s_addc_u32 s3, s3, s18
	s_add_i32 s9, s9, s4
	s_add_u32 s2, s2, s8
	s_addc_u32 s3, s3, s9
	v_mul_lo_u32 v5, s10, v5
	v_mad_u64_u32 v[2:3], null, s10, v4, s[2:3]
	v_mul_lo_u32 v4, s11, v4
	v_mul_lo_u32 v1, s12, v1
	s_delay_alu instid0(VALU_DEP_2)
	v_add3_u32 v3, v4, v3, v5
	global_load_u8 v4, v[2:3], off
	s_clause 0x1
	s_load_b128 s[4:7], s[0:1], 0x58
	s_load_b64 s[0:1], s[0:1], 0x38
	s_waitcnt lgkmcnt(0)
	s_mul_i32 s2, s5, s15
	s_mul_hi_u32 s3, s4, s15
	s_mul_i32 s4, s4, s15
	s_add_i32 s3, s3, s2
	s_add_u32 s0, s0, s4
	s_addc_u32 s1, s1, s3
	s_mul_i32 s2, s7, s14
	s_mul_hi_u32 s3, s6, s14
	s_mul_i32 s4, s6, s14
	s_add_i32 s3, s3, s2
	s_add_u32 s0, s0, s4
	s_addc_u32 s1, s1, s3
	s_delay_alu instid0(SALU_CYCLE_1) | instskip(SKIP_1) | instid1(VALU_DEP_1)
	v_mad_u64_u32 v[2:3], null, s12, v0, s[0:1]
	v_mul_lo_u32 v0, s13, v0
	v_add3_u32 v3, v0, v3, v1
	s_waitcnt vmcnt(0)
	global_store_b8 v[2:3], v4, off
.LBB13_6:
	s_nop 0
	s_sendmsg sendmsg(MSG_DEALLOC_VGPRS)
	s_endpgm
	.section	.rodata,"a",@progbits
	.p2align	6, 0x0
	.amdhsa_kernel _ZN2at6native12_GLOBAL__N_132replication_pad_forward_kernel1dIaEEvN5torch10headeronly6detail27GenericPackedTensorAccessorINS5_14TensorAccessorIN3c108ArrayRefIlEEKT_Lm2ENS4_16DefaultPtrTraitsElEENS_6detail16IndexBoundsCheckILm3ElEESC_Lm3ESD_lEENS6_INS7_ISA_SB_Lm2ESD_lEESH_SB_Lm3ESD_lEEiii
		.amdhsa_group_segment_fixed_size 0
		.amdhsa_private_segment_fixed_size 0
		.amdhsa_kernarg_size 384
		.amdhsa_user_sgpr_count 13
		.amdhsa_user_sgpr_dispatch_ptr 0
		.amdhsa_user_sgpr_queue_ptr 0
		.amdhsa_user_sgpr_kernarg_segment_ptr 1
		.amdhsa_user_sgpr_dispatch_id 0
		.amdhsa_user_sgpr_private_segment_size 0
		.amdhsa_wavefront_size32 1
		.amdhsa_uses_dynamic_stack 0
		.amdhsa_enable_private_segment 0
		.amdhsa_system_sgpr_workgroup_id_x 1
		.amdhsa_system_sgpr_workgroup_id_y 1
		.amdhsa_system_sgpr_workgroup_id_z 1
		.amdhsa_system_sgpr_workgroup_info 0
		.amdhsa_system_vgpr_workitem_id 0
		.amdhsa_next_free_vgpr 11
		.amdhsa_next_free_sgpr 20
		.amdhsa_reserve_vcc 1
		.amdhsa_float_round_mode_32 0
		.amdhsa_float_round_mode_16_64 0
		.amdhsa_float_denorm_mode_32 3
		.amdhsa_float_denorm_mode_16_64 3
		.amdhsa_dx10_clamp 1
		.amdhsa_ieee_mode 1
		.amdhsa_fp16_overflow 0
		.amdhsa_workgroup_processor_mode 1
		.amdhsa_memory_ordered 1
		.amdhsa_forward_progress 0
		.amdhsa_shared_vgpr_count 0
		.amdhsa_exception_fp_ieee_invalid_op 0
		.amdhsa_exception_fp_denorm_src 0
		.amdhsa_exception_fp_ieee_div_zero 0
		.amdhsa_exception_fp_ieee_overflow 0
		.amdhsa_exception_fp_ieee_underflow 0
		.amdhsa_exception_fp_ieee_inexact 0
		.amdhsa_exception_int_div_zero 0
	.end_amdhsa_kernel
	.section	.text._ZN2at6native12_GLOBAL__N_132replication_pad_forward_kernel1dIaEEvN5torch10headeronly6detail27GenericPackedTensorAccessorINS5_14TensorAccessorIN3c108ArrayRefIlEEKT_Lm2ENS4_16DefaultPtrTraitsElEENS_6detail16IndexBoundsCheckILm3ElEESC_Lm3ESD_lEENS6_INS7_ISA_SB_Lm2ESD_lEESH_SB_Lm3ESD_lEEiii,"axG",@progbits,_ZN2at6native12_GLOBAL__N_132replication_pad_forward_kernel1dIaEEvN5torch10headeronly6detail27GenericPackedTensorAccessorINS5_14TensorAccessorIN3c108ArrayRefIlEEKT_Lm2ENS4_16DefaultPtrTraitsElEENS_6detail16IndexBoundsCheckILm3ElEESC_Lm3ESD_lEENS6_INS7_ISA_SB_Lm2ESD_lEESH_SB_Lm3ESD_lEEiii,comdat
.Lfunc_end13:
	.size	_ZN2at6native12_GLOBAL__N_132replication_pad_forward_kernel1dIaEEvN5torch10headeronly6detail27GenericPackedTensorAccessorINS5_14TensorAccessorIN3c108ArrayRefIlEEKT_Lm2ENS4_16DefaultPtrTraitsElEENS_6detail16IndexBoundsCheckILm3ElEESC_Lm3ESD_lEENS6_INS7_ISA_SB_Lm2ESD_lEESH_SB_Lm3ESD_lEEiii, .Lfunc_end13-_ZN2at6native12_GLOBAL__N_132replication_pad_forward_kernel1dIaEEvN5torch10headeronly6detail27GenericPackedTensorAccessorINS5_14TensorAccessorIN3c108ArrayRefIlEEKT_Lm2ENS4_16DefaultPtrTraitsElEENS_6detail16IndexBoundsCheckILm3ElEESC_Lm3ESD_lEENS6_INS7_ISA_SB_Lm2ESD_lEESH_SB_Lm3ESD_lEEiii
                                        ; -- End function
	.section	.AMDGPU.csdata,"",@progbits
; Kernel info:
; codeLenInByte = 1284
; NumSgprs: 22
; NumVgprs: 11
; ScratchSize: 0
; MemoryBound: 0
; FloatMode: 240
; IeeeMode: 1
; LDSByteSize: 0 bytes/workgroup (compile time only)
; SGPRBlocks: 2
; VGPRBlocks: 1
; NumSGPRsForWavesPerEU: 22
; NumVGPRsForWavesPerEU: 11
; Occupancy: 16
; WaveLimiterHint : 1
; COMPUTE_PGM_RSRC2:SCRATCH_EN: 0
; COMPUTE_PGM_RSRC2:USER_SGPR: 13
; COMPUTE_PGM_RSRC2:TRAP_HANDLER: 0
; COMPUTE_PGM_RSRC2:TGID_X_EN: 1
; COMPUTE_PGM_RSRC2:TGID_Y_EN: 1
; COMPUTE_PGM_RSRC2:TGID_Z_EN: 1
; COMPUTE_PGM_RSRC2:TIDIG_COMP_CNT: 0
	.section	.text._ZN2at6native12_GLOBAL__N_132replication_pad_forward_kernel1dIiEEvN5torch10headeronly6detail27GenericPackedTensorAccessorINS5_14TensorAccessorIN3c108ArrayRefIlEEKT_Lm2ENS4_16DefaultPtrTraitsElEENS_6detail16IndexBoundsCheckILm3ElEESC_Lm3ESD_lEENS6_INS7_ISA_SB_Lm2ESD_lEESH_SB_Lm3ESD_lEEiii,"axG",@progbits,_ZN2at6native12_GLOBAL__N_132replication_pad_forward_kernel1dIiEEvN5torch10headeronly6detail27GenericPackedTensorAccessorINS5_14TensorAccessorIN3c108ArrayRefIlEEKT_Lm2ENS4_16DefaultPtrTraitsElEENS_6detail16IndexBoundsCheckILm3ElEESC_Lm3ESD_lEENS6_INS7_ISA_SB_Lm2ESD_lEESH_SB_Lm3ESD_lEEiii,comdat
	.globl	_ZN2at6native12_GLOBAL__N_132replication_pad_forward_kernel1dIiEEvN5torch10headeronly6detail27GenericPackedTensorAccessorINS5_14TensorAccessorIN3c108ArrayRefIlEEKT_Lm2ENS4_16DefaultPtrTraitsElEENS_6detail16IndexBoundsCheckILm3ElEESC_Lm3ESD_lEENS6_INS7_ISA_SB_Lm2ESD_lEESH_SB_Lm3ESD_lEEiii ; -- Begin function _ZN2at6native12_GLOBAL__N_132replication_pad_forward_kernel1dIiEEvN5torch10headeronly6detail27GenericPackedTensorAccessorINS5_14TensorAccessorIN3c108ArrayRefIlEEKT_Lm2ENS4_16DefaultPtrTraitsElEENS_6detail16IndexBoundsCheckILm3ElEESC_Lm3ESD_lEENS6_INS7_ISA_SB_Lm2ESD_lEESH_SB_Lm3ESD_lEEiii
	.p2align	8
	.type	_ZN2at6native12_GLOBAL__N_132replication_pad_forward_kernel1dIiEEvN5torch10headeronly6detail27GenericPackedTensorAccessorINS5_14TensorAccessorIN3c108ArrayRefIlEEKT_Lm2ENS4_16DefaultPtrTraitsElEENS_6detail16IndexBoundsCheckILm3ElEESC_Lm3ESD_lEENS6_INS7_ISA_SB_Lm2ESD_lEESH_SB_Lm3ESD_lEEiii,@function
_ZN2at6native12_GLOBAL__N_132replication_pad_forward_kernel1dIiEEvN5torch10headeronly6detail27GenericPackedTensorAccessorINS5_14TensorAccessorIN3c108ArrayRefIlEEKT_Lm2ENS4_16DefaultPtrTraitsElEENS_6detail16IndexBoundsCheckILm3ElEESC_Lm3ESD_lEENS6_INS7_ISA_SB_Lm2ESD_lEESH_SB_Lm3ESD_lEEiii: ; @_ZN2at6native12_GLOBAL__N_132replication_pad_forward_kernel1dIiEEvN5torch10headeronly6detail27GenericPackedTensorAccessorINS5_14TensorAccessorIN3c108ArrayRefIlEEKT_Lm2ENS4_16DefaultPtrTraitsElEENS_6detail16IndexBoundsCheckILm3ElEESC_Lm3ESD_lEENS6_INS7_ISA_SB_Lm2ESD_lEESH_SB_Lm3ESD_lEEiii
; %bb.0:
	s_clause 0x1
	s_load_b32 s2, s[0:1], 0x8c
	s_load_b64 s[4:5], s[0:1], 0x50
	v_mov_b32_e32 v4, 0
	s_delay_alu instid0(VALU_DEP_1)
	v_mov_b32_e32 v1, v4
	s_waitcnt lgkmcnt(0)
	s_and_b32 s2, s2, 0xffff
	s_delay_alu instid0(VALU_DEP_1) | instid1(SALU_CYCLE_1)
	v_mad_u64_u32 v[2:3], null, s2, s13, v[0:1]
	s_mov_b32 s2, exec_lo
	s_delay_alu instid0(VALU_DEP_1)
	v_cmpx_gt_i64_e64 s[4:5], v[2:3]
	s_cbranch_execz .LBB14_6
; %bb.1:
	v_or_b32_e32 v5, s5, v3
                                        ; implicit-def: $vgpr0_vgpr1
	s_mov_b32 s2, exec_lo
	s_delay_alu instid0(VALU_DEP_1)
	v_cmpx_ne_u64_e32 0, v[4:5]
	s_xor_b32 s3, exec_lo, s2
	s_cbranch_execz .LBB14_3
; %bb.2:
	v_cvt_f32_u32_e32 v0, s4
	v_cvt_f32_u32_e32 v1, s5
	s_sub_u32 s2, 0, s4
	s_subb_u32 s6, 0, s5
	s_delay_alu instid0(VALU_DEP_1) | instskip(NEXT) | instid1(VALU_DEP_1)
	v_fmamk_f32 v0, v1, 0x4f800000, v0
	v_rcp_f32_e32 v0, v0
	s_waitcnt_depctr 0xfff
	v_mul_f32_e32 v0, 0x5f7ffffc, v0
	s_delay_alu instid0(VALU_DEP_1) | instskip(NEXT) | instid1(VALU_DEP_1)
	v_mul_f32_e32 v1, 0x2f800000, v0
	v_trunc_f32_e32 v1, v1
	s_delay_alu instid0(VALU_DEP_1) | instskip(SKIP_1) | instid1(VALU_DEP_2)
	v_fmamk_f32 v0, v1, 0xcf800000, v0
	v_cvt_u32_f32_e32 v1, v1
	v_cvt_u32_f32_e32 v0, v0
	s_delay_alu instid0(VALU_DEP_2) | instskip(NEXT) | instid1(VALU_DEP_2)
	v_mul_lo_u32 v4, s2, v1
	v_mul_hi_u32 v5, s2, v0
	v_mul_lo_u32 v6, s6, v0
	s_delay_alu instid0(VALU_DEP_2) | instskip(SKIP_1) | instid1(VALU_DEP_2)
	v_add_nc_u32_e32 v4, v5, v4
	v_mul_lo_u32 v5, s2, v0
	v_add_nc_u32_e32 v4, v4, v6
	s_delay_alu instid0(VALU_DEP_2) | instskip(NEXT) | instid1(VALU_DEP_2)
	v_mul_hi_u32 v6, v0, v5
	v_mul_lo_u32 v7, v0, v4
	v_mul_hi_u32 v8, v0, v4
	v_mul_hi_u32 v9, v1, v5
	v_mul_lo_u32 v5, v1, v5
	v_mul_hi_u32 v10, v1, v4
	v_mul_lo_u32 v4, v1, v4
	v_add_co_u32 v6, vcc_lo, v6, v7
	v_add_co_ci_u32_e32 v7, vcc_lo, 0, v8, vcc_lo
	s_delay_alu instid0(VALU_DEP_2) | instskip(NEXT) | instid1(VALU_DEP_2)
	v_add_co_u32 v5, vcc_lo, v6, v5
	v_add_co_ci_u32_e32 v5, vcc_lo, v7, v9, vcc_lo
	v_add_co_ci_u32_e32 v6, vcc_lo, 0, v10, vcc_lo
	s_delay_alu instid0(VALU_DEP_2) | instskip(NEXT) | instid1(VALU_DEP_2)
	v_add_co_u32 v4, vcc_lo, v5, v4
	v_add_co_ci_u32_e32 v5, vcc_lo, 0, v6, vcc_lo
	s_delay_alu instid0(VALU_DEP_2) | instskip(NEXT) | instid1(VALU_DEP_2)
	v_add_co_u32 v0, vcc_lo, v0, v4
	v_add_co_ci_u32_e32 v1, vcc_lo, v1, v5, vcc_lo
	s_delay_alu instid0(VALU_DEP_2) | instskip(SKIP_1) | instid1(VALU_DEP_3)
	v_mul_hi_u32 v4, s2, v0
	v_mul_lo_u32 v6, s6, v0
	v_mul_lo_u32 v5, s2, v1
	s_delay_alu instid0(VALU_DEP_1) | instskip(SKIP_1) | instid1(VALU_DEP_2)
	v_add_nc_u32_e32 v4, v4, v5
	v_mul_lo_u32 v5, s2, v0
	v_add_nc_u32_e32 v4, v4, v6
	s_delay_alu instid0(VALU_DEP_2) | instskip(NEXT) | instid1(VALU_DEP_2)
	v_mul_hi_u32 v6, v0, v5
	v_mul_lo_u32 v7, v0, v4
	v_mul_hi_u32 v8, v0, v4
	v_mul_hi_u32 v9, v1, v5
	v_mul_lo_u32 v5, v1, v5
	v_mul_hi_u32 v10, v1, v4
	v_mul_lo_u32 v4, v1, v4
	v_add_co_u32 v6, vcc_lo, v6, v7
	v_add_co_ci_u32_e32 v7, vcc_lo, 0, v8, vcc_lo
	s_delay_alu instid0(VALU_DEP_2) | instskip(NEXT) | instid1(VALU_DEP_2)
	v_add_co_u32 v5, vcc_lo, v6, v5
	v_add_co_ci_u32_e32 v5, vcc_lo, v7, v9, vcc_lo
	v_add_co_ci_u32_e32 v6, vcc_lo, 0, v10, vcc_lo
	s_delay_alu instid0(VALU_DEP_2) | instskip(NEXT) | instid1(VALU_DEP_2)
	v_add_co_u32 v4, vcc_lo, v5, v4
	v_add_co_ci_u32_e32 v5, vcc_lo, 0, v6, vcc_lo
	s_delay_alu instid0(VALU_DEP_2) | instskip(NEXT) | instid1(VALU_DEP_2)
	v_add_co_u32 v6, vcc_lo, v0, v4
	v_add_co_ci_u32_e32 v8, vcc_lo, v1, v5, vcc_lo
	s_delay_alu instid0(VALU_DEP_2) | instskip(SKIP_1) | instid1(VALU_DEP_3)
	v_mul_hi_u32 v9, v2, v6
	v_mad_u64_u32 v[4:5], null, v3, v6, 0
	v_mad_u64_u32 v[0:1], null, v2, v8, 0
	v_mad_u64_u32 v[6:7], null, v3, v8, 0
	s_delay_alu instid0(VALU_DEP_2) | instskip(NEXT) | instid1(VALU_DEP_3)
	v_add_co_u32 v0, vcc_lo, v9, v0
	v_add_co_ci_u32_e32 v1, vcc_lo, 0, v1, vcc_lo
	s_delay_alu instid0(VALU_DEP_2) | instskip(NEXT) | instid1(VALU_DEP_2)
	v_add_co_u32 v0, vcc_lo, v0, v4
	v_add_co_ci_u32_e32 v0, vcc_lo, v1, v5, vcc_lo
	v_add_co_ci_u32_e32 v1, vcc_lo, 0, v7, vcc_lo
	s_delay_alu instid0(VALU_DEP_2) | instskip(NEXT) | instid1(VALU_DEP_2)
	v_add_co_u32 v4, vcc_lo, v0, v6
	v_add_co_ci_u32_e32 v5, vcc_lo, 0, v1, vcc_lo
	s_delay_alu instid0(VALU_DEP_2) | instskip(SKIP_1) | instid1(VALU_DEP_3)
	v_mul_lo_u32 v6, s5, v4
	v_mad_u64_u32 v[0:1], null, s4, v4, 0
	v_mul_lo_u32 v4, s4, v5
	s_delay_alu instid0(VALU_DEP_2) | instskip(NEXT) | instid1(VALU_DEP_2)
	v_sub_co_u32 v0, vcc_lo, v2, v0
	v_add3_u32 v1, v1, v4, v6
	s_delay_alu instid0(VALU_DEP_1) | instskip(NEXT) | instid1(VALU_DEP_1)
	v_sub_nc_u32_e32 v4, v3, v1
	v_subrev_co_ci_u32_e64 v2, s2, s5, v4, vcc_lo
	v_sub_co_ci_u32_e32 v1, vcc_lo, v3, v1, vcc_lo
	v_sub_co_u32 v3, vcc_lo, v0, s4
	s_delay_alu instid0(VALU_DEP_1) | instskip(SKIP_3) | instid1(VALU_DEP_3)
	v_subrev_co_ci_u32_e64 v4, s2, 0, v2, vcc_lo
	v_cmp_le_u32_e64 s2, s4, v0
	v_subrev_co_ci_u32_e32 v2, vcc_lo, s5, v2, vcc_lo
	v_cmp_le_u32_e32 vcc_lo, s5, v1
	v_cndmask_b32_e64 v5, 0, -1, s2
	v_cmp_le_u32_e64 s2, s4, v3
	v_cndmask_b32_e64 v8, 0, -1, vcc_lo
	v_cmp_eq_u32_e32 vcc_lo, s5, v4
	s_delay_alu instid0(VALU_DEP_3) | instskip(SKIP_1) | instid1(VALU_DEP_1)
	v_cndmask_b32_e64 v6, 0, -1, s2
	v_cmp_le_u32_e64 s2, s5, v4
	v_cndmask_b32_e64 v7, 0, -1, s2
	v_cmp_eq_u32_e64 s2, s5, v1
	s_delay_alu instid0(VALU_DEP_2) | instskip(SKIP_2) | instid1(VALU_DEP_3)
	v_cndmask_b32_e32 v6, v7, v6, vcc_lo
	v_sub_co_u32 v7, vcc_lo, v3, s4
	v_subrev_co_ci_u32_e32 v2, vcc_lo, 0, v2, vcc_lo
	v_cmp_ne_u32_e32 vcc_lo, 0, v6
	v_cndmask_b32_e64 v5, v8, v5, s2
	s_delay_alu instid0(VALU_DEP_3) | instskip(NEXT) | instid1(VALU_DEP_2)
	v_dual_cndmask_b32 v2, v4, v2 :: v_dual_cndmask_b32 v3, v3, v7
	v_cmp_ne_u32_e32 vcc_lo, 0, v5
	s_delay_alu instid0(VALU_DEP_2)
	v_dual_cndmask_b32 v1, v1, v2 :: v_dual_cndmask_b32 v0, v0, v3
                                        ; implicit-def: $vgpr2_vgpr3
.LBB14_3:
	s_and_not1_saveexec_b32 s2, s3
	s_cbranch_execz .LBB14_5
; %bb.4:
	v_cvt_f32_u32_e32 v0, s4
	s_sub_i32 s3, 0, s4
	s_delay_alu instid0(VALU_DEP_1) | instskip(SKIP_2) | instid1(VALU_DEP_1)
	v_rcp_iflag_f32_e32 v0, v0
	s_waitcnt_depctr 0xfff
	v_mul_f32_e32 v0, 0x4f7ffffe, v0
	v_cvt_u32_f32_e32 v0, v0
	s_delay_alu instid0(VALU_DEP_1) | instskip(NEXT) | instid1(VALU_DEP_1)
	v_mul_lo_u32 v1, s3, v0
	v_mul_hi_u32 v1, v0, v1
	s_delay_alu instid0(VALU_DEP_1) | instskip(NEXT) | instid1(VALU_DEP_1)
	v_add_nc_u32_e32 v0, v0, v1
	v_mul_hi_u32 v0, v2, v0
	s_delay_alu instid0(VALU_DEP_1) | instskip(NEXT) | instid1(VALU_DEP_1)
	v_mul_lo_u32 v0, v0, s4
	v_sub_nc_u32_e32 v0, v2, v0
	s_delay_alu instid0(VALU_DEP_1) | instskip(SKIP_1) | instid1(VALU_DEP_2)
	v_subrev_nc_u32_e32 v1, s4, v0
	v_cmp_le_u32_e32 vcc_lo, s4, v0
	v_cndmask_b32_e32 v0, v0, v1, vcc_lo
	s_delay_alu instid0(VALU_DEP_1) | instskip(SKIP_1) | instid1(VALU_DEP_2)
	v_subrev_nc_u32_e32 v1, s4, v0
	v_cmp_le_u32_e32 vcc_lo, s4, v0
	v_dual_cndmask_b32 v0, v0, v1 :: v_dual_mov_b32 v1, 0
.LBB14_5:
	s_or_b32 exec_lo, exec_lo, s2
	s_clause 0x2
	s_load_b256 s[4:11], s[0:1], 0x18
	s_load_b128 s[16:19], s[0:1], 0x70
	s_load_b64 s[2:3], s[0:1], 0x68
	s_waitcnt lgkmcnt(0)
	s_add_i32 s4, s16, s4
	s_sub_i32 s5, 0, s16
	s_add_i32 s4, s4, -1
	s_max_i32 s12, s16, 0
	v_maxmin_i32 v2, s16, v0, s4
	s_max_i32 s4, s5, 0
	s_add_i32 s15, s15, s18
	s_sub_i32 s4, s4, s12
	s_mul_i32 s7, s7, s15
	v_add_nc_u32_e32 v4, s4, v2
	s_load_b64 s[4:5], s[0:1], 0x0
	s_add_i32 s14, s14, s17
	s_delay_alu instid0(SALU_CYCLE_1) | instskip(NEXT) | instid1(VALU_DEP_1)
	s_mul_i32 s9, s9, s14
	v_ashrrev_i32_e32 v5, 31, v4
	v_mul_lo_u32 v6, s11, v4
	v_mad_u64_u32 v[2:3], null, s10, v4, 0
	s_delay_alu instid0(VALU_DEP_3)
	v_mul_lo_u32 v4, s10, v5
	s_mul_hi_u32 s10, s6, s15
	s_mul_i32 s6, s6, s15
	s_add_i32 s7, s10, s7
	s_mul_hi_u32 s10, s8, s14
	s_lshl_b64 s[6:7], s[6:7], 2
	s_mul_i32 s8, s8, s14
	v_mul_lo_u32 v5, s2, v1
	v_add3_u32 v3, v3, v4, v6
	v_mul_lo_u32 v4, s3, v0
	s_waitcnt lgkmcnt(0)
	s_add_u32 s6, s4, s6
	s_addc_u32 s7, s5, s7
	s_add_i32 s9, s10, s9
	v_lshlrev_b64 v[2:3], 2, v[2:3]
	s_lshl_b64 s[4:5], s[8:9], 2
	s_delay_alu instid0(SALU_CYCLE_1) | instskip(SKIP_1) | instid1(VALU_DEP_1)
	s_add_u32 s4, s6, s4
	s_addc_u32 s5, s7, s5
	v_add_co_u32 v2, vcc_lo, s4, v2
	s_delay_alu instid0(VALU_DEP_2)
	v_add_co_ci_u32_e32 v3, vcc_lo, s5, v3, vcc_lo
	global_load_b32 v3, v[2:3], off
	s_clause 0x1
	s_load_b128 s[4:7], s[0:1], 0x58
	s_load_b64 s[0:1], s[0:1], 0x38
	v_mad_u64_u32 v[1:2], null, s2, v0, 0
	s_delay_alu instid0(VALU_DEP_1) | instskip(NEXT) | instid1(VALU_DEP_1)
	v_add3_u32 v2, v2, v5, v4
	v_lshlrev_b64 v[0:1], 2, v[1:2]
	s_waitcnt lgkmcnt(0)
	s_mul_i32 s5, s5, s15
	s_mul_hi_u32 s8, s4, s15
	s_mul_i32 s2, s4, s15
	s_add_i32 s3, s8, s5
	s_mul_hi_u32 s4, s6, s14
	s_lshl_b64 s[2:3], s[2:3], 2
	s_delay_alu instid0(SALU_CYCLE_1) | instskip(SKIP_4) | instid1(SALU_CYCLE_1)
	s_add_u32 s2, s0, s2
	s_mul_i32 s0, s7, s14
	s_addc_u32 s3, s1, s3
	s_add_i32 s1, s4, s0
	s_mul_i32 s0, s6, s14
	s_lshl_b64 s[0:1], s[0:1], 2
	s_delay_alu instid0(SALU_CYCLE_1)
	s_add_u32 s0, s2, s0
	s_addc_u32 s1, s3, s1
	v_add_co_u32 v0, vcc_lo, s0, v0
	v_add_co_ci_u32_e32 v1, vcc_lo, s1, v1, vcc_lo
	s_waitcnt vmcnt(0)
	global_store_b32 v[0:1], v3, off
.LBB14_6:
	s_nop 0
	s_sendmsg sendmsg(MSG_DEALLOC_VGPRS)
	s_endpgm
	.section	.rodata,"a",@progbits
	.p2align	6, 0x0
	.amdhsa_kernel _ZN2at6native12_GLOBAL__N_132replication_pad_forward_kernel1dIiEEvN5torch10headeronly6detail27GenericPackedTensorAccessorINS5_14TensorAccessorIN3c108ArrayRefIlEEKT_Lm2ENS4_16DefaultPtrTraitsElEENS_6detail16IndexBoundsCheckILm3ElEESC_Lm3ESD_lEENS6_INS7_ISA_SB_Lm2ESD_lEESH_SB_Lm3ESD_lEEiii
		.amdhsa_group_segment_fixed_size 0
		.amdhsa_private_segment_fixed_size 0
		.amdhsa_kernarg_size 384
		.amdhsa_user_sgpr_count 13
		.amdhsa_user_sgpr_dispatch_ptr 0
		.amdhsa_user_sgpr_queue_ptr 0
		.amdhsa_user_sgpr_kernarg_segment_ptr 1
		.amdhsa_user_sgpr_dispatch_id 0
		.amdhsa_user_sgpr_private_segment_size 0
		.amdhsa_wavefront_size32 1
		.amdhsa_uses_dynamic_stack 0
		.amdhsa_enable_private_segment 0
		.amdhsa_system_sgpr_workgroup_id_x 1
		.amdhsa_system_sgpr_workgroup_id_y 1
		.amdhsa_system_sgpr_workgroup_id_z 1
		.amdhsa_system_sgpr_workgroup_info 0
		.amdhsa_system_vgpr_workitem_id 0
		.amdhsa_next_free_vgpr 11
		.amdhsa_next_free_sgpr 20
		.amdhsa_reserve_vcc 1
		.amdhsa_float_round_mode_32 0
		.amdhsa_float_round_mode_16_64 0
		.amdhsa_float_denorm_mode_32 3
		.amdhsa_float_denorm_mode_16_64 3
		.amdhsa_dx10_clamp 1
		.amdhsa_ieee_mode 1
		.amdhsa_fp16_overflow 0
		.amdhsa_workgroup_processor_mode 1
		.amdhsa_memory_ordered 1
		.amdhsa_forward_progress 0
		.amdhsa_shared_vgpr_count 0
		.amdhsa_exception_fp_ieee_invalid_op 0
		.amdhsa_exception_fp_denorm_src 0
		.amdhsa_exception_fp_ieee_div_zero 0
		.amdhsa_exception_fp_ieee_overflow 0
		.amdhsa_exception_fp_ieee_underflow 0
		.amdhsa_exception_fp_ieee_inexact 0
		.amdhsa_exception_int_div_zero 0
	.end_amdhsa_kernel
	.section	.text._ZN2at6native12_GLOBAL__N_132replication_pad_forward_kernel1dIiEEvN5torch10headeronly6detail27GenericPackedTensorAccessorINS5_14TensorAccessorIN3c108ArrayRefIlEEKT_Lm2ENS4_16DefaultPtrTraitsElEENS_6detail16IndexBoundsCheckILm3ElEESC_Lm3ESD_lEENS6_INS7_ISA_SB_Lm2ESD_lEESH_SB_Lm3ESD_lEEiii,"axG",@progbits,_ZN2at6native12_GLOBAL__N_132replication_pad_forward_kernel1dIiEEvN5torch10headeronly6detail27GenericPackedTensorAccessorINS5_14TensorAccessorIN3c108ArrayRefIlEEKT_Lm2ENS4_16DefaultPtrTraitsElEENS_6detail16IndexBoundsCheckILm3ElEESC_Lm3ESD_lEENS6_INS7_ISA_SB_Lm2ESD_lEESH_SB_Lm3ESD_lEEiii,comdat
.Lfunc_end14:
	.size	_ZN2at6native12_GLOBAL__N_132replication_pad_forward_kernel1dIiEEvN5torch10headeronly6detail27GenericPackedTensorAccessorINS5_14TensorAccessorIN3c108ArrayRefIlEEKT_Lm2ENS4_16DefaultPtrTraitsElEENS_6detail16IndexBoundsCheckILm3ElEESC_Lm3ESD_lEENS6_INS7_ISA_SB_Lm2ESD_lEESH_SB_Lm3ESD_lEEiii, .Lfunc_end14-_ZN2at6native12_GLOBAL__N_132replication_pad_forward_kernel1dIiEEvN5torch10headeronly6detail27GenericPackedTensorAccessorINS5_14TensorAccessorIN3c108ArrayRefIlEEKT_Lm2ENS4_16DefaultPtrTraitsElEENS_6detail16IndexBoundsCheckILm3ElEESC_Lm3ESD_lEENS6_INS7_ISA_SB_Lm2ESD_lEESH_SB_Lm3ESD_lEEiii
                                        ; -- End function
	.section	.AMDGPU.csdata,"",@progbits
; Kernel info:
; codeLenInByte = 1364
; NumSgprs: 22
; NumVgprs: 11
; ScratchSize: 0
; MemoryBound: 0
; FloatMode: 240
; IeeeMode: 1
; LDSByteSize: 0 bytes/workgroup (compile time only)
; SGPRBlocks: 2
; VGPRBlocks: 1
; NumSGPRsForWavesPerEU: 22
; NumVGPRsForWavesPerEU: 11
; Occupancy: 16
; WaveLimiterHint : 1
; COMPUTE_PGM_RSRC2:SCRATCH_EN: 0
; COMPUTE_PGM_RSRC2:USER_SGPR: 13
; COMPUTE_PGM_RSRC2:TRAP_HANDLER: 0
; COMPUTE_PGM_RSRC2:TGID_X_EN: 1
; COMPUTE_PGM_RSRC2:TGID_Y_EN: 1
; COMPUTE_PGM_RSRC2:TGID_Z_EN: 1
; COMPUTE_PGM_RSRC2:TIDIG_COMP_CNT: 0
	.section	.text._ZN2at6native12_GLOBAL__N_132replication_pad_forward_kernel1dIlEEvN5torch10headeronly6detail27GenericPackedTensorAccessorINS5_14TensorAccessorIN3c108ArrayRefIlEEKT_Lm2ENS4_16DefaultPtrTraitsElEENS_6detail16IndexBoundsCheckILm3ElEESC_Lm3ESD_lEENS6_INS7_ISA_SB_Lm2ESD_lEESH_SB_Lm3ESD_lEEiii,"axG",@progbits,_ZN2at6native12_GLOBAL__N_132replication_pad_forward_kernel1dIlEEvN5torch10headeronly6detail27GenericPackedTensorAccessorINS5_14TensorAccessorIN3c108ArrayRefIlEEKT_Lm2ENS4_16DefaultPtrTraitsElEENS_6detail16IndexBoundsCheckILm3ElEESC_Lm3ESD_lEENS6_INS7_ISA_SB_Lm2ESD_lEESH_SB_Lm3ESD_lEEiii,comdat
	.globl	_ZN2at6native12_GLOBAL__N_132replication_pad_forward_kernel1dIlEEvN5torch10headeronly6detail27GenericPackedTensorAccessorINS5_14TensorAccessorIN3c108ArrayRefIlEEKT_Lm2ENS4_16DefaultPtrTraitsElEENS_6detail16IndexBoundsCheckILm3ElEESC_Lm3ESD_lEENS6_INS7_ISA_SB_Lm2ESD_lEESH_SB_Lm3ESD_lEEiii ; -- Begin function _ZN2at6native12_GLOBAL__N_132replication_pad_forward_kernel1dIlEEvN5torch10headeronly6detail27GenericPackedTensorAccessorINS5_14TensorAccessorIN3c108ArrayRefIlEEKT_Lm2ENS4_16DefaultPtrTraitsElEENS_6detail16IndexBoundsCheckILm3ElEESC_Lm3ESD_lEENS6_INS7_ISA_SB_Lm2ESD_lEESH_SB_Lm3ESD_lEEiii
	.p2align	8
	.type	_ZN2at6native12_GLOBAL__N_132replication_pad_forward_kernel1dIlEEvN5torch10headeronly6detail27GenericPackedTensorAccessorINS5_14TensorAccessorIN3c108ArrayRefIlEEKT_Lm2ENS4_16DefaultPtrTraitsElEENS_6detail16IndexBoundsCheckILm3ElEESC_Lm3ESD_lEENS6_INS7_ISA_SB_Lm2ESD_lEESH_SB_Lm3ESD_lEEiii,@function
_ZN2at6native12_GLOBAL__N_132replication_pad_forward_kernel1dIlEEvN5torch10headeronly6detail27GenericPackedTensorAccessorINS5_14TensorAccessorIN3c108ArrayRefIlEEKT_Lm2ENS4_16DefaultPtrTraitsElEENS_6detail16IndexBoundsCheckILm3ElEESC_Lm3ESD_lEENS6_INS7_ISA_SB_Lm2ESD_lEESH_SB_Lm3ESD_lEEiii: ; @_ZN2at6native12_GLOBAL__N_132replication_pad_forward_kernel1dIlEEvN5torch10headeronly6detail27GenericPackedTensorAccessorINS5_14TensorAccessorIN3c108ArrayRefIlEEKT_Lm2ENS4_16DefaultPtrTraitsElEENS_6detail16IndexBoundsCheckILm3ElEESC_Lm3ESD_lEENS6_INS7_ISA_SB_Lm2ESD_lEESH_SB_Lm3ESD_lEEiii
; %bb.0:
	s_clause 0x1
	s_load_b32 s2, s[0:1], 0x8c
	s_load_b64 s[4:5], s[0:1], 0x50
	v_mov_b32_e32 v4, 0
	s_delay_alu instid0(VALU_DEP_1)
	v_mov_b32_e32 v1, v4
	s_waitcnt lgkmcnt(0)
	s_and_b32 s2, s2, 0xffff
	s_delay_alu instid0(VALU_DEP_1) | instid1(SALU_CYCLE_1)
	v_mad_u64_u32 v[2:3], null, s2, s13, v[0:1]
	s_mov_b32 s2, exec_lo
	s_delay_alu instid0(VALU_DEP_1)
	v_cmpx_gt_i64_e64 s[4:5], v[2:3]
	s_cbranch_execz .LBB15_6
; %bb.1:
	v_or_b32_e32 v5, s5, v3
                                        ; implicit-def: $vgpr0_vgpr1
	s_mov_b32 s2, exec_lo
	s_delay_alu instid0(VALU_DEP_1)
	v_cmpx_ne_u64_e32 0, v[4:5]
	s_xor_b32 s3, exec_lo, s2
	s_cbranch_execz .LBB15_3
; %bb.2:
	v_cvt_f32_u32_e32 v0, s4
	v_cvt_f32_u32_e32 v1, s5
	s_sub_u32 s2, 0, s4
	s_subb_u32 s6, 0, s5
	s_delay_alu instid0(VALU_DEP_1) | instskip(NEXT) | instid1(VALU_DEP_1)
	v_fmamk_f32 v0, v1, 0x4f800000, v0
	v_rcp_f32_e32 v0, v0
	s_waitcnt_depctr 0xfff
	v_mul_f32_e32 v0, 0x5f7ffffc, v0
	s_delay_alu instid0(VALU_DEP_1) | instskip(NEXT) | instid1(VALU_DEP_1)
	v_mul_f32_e32 v1, 0x2f800000, v0
	v_trunc_f32_e32 v1, v1
	s_delay_alu instid0(VALU_DEP_1) | instskip(SKIP_1) | instid1(VALU_DEP_2)
	v_fmamk_f32 v0, v1, 0xcf800000, v0
	v_cvt_u32_f32_e32 v1, v1
	v_cvt_u32_f32_e32 v0, v0
	s_delay_alu instid0(VALU_DEP_2) | instskip(NEXT) | instid1(VALU_DEP_2)
	v_mul_lo_u32 v4, s2, v1
	v_mul_hi_u32 v5, s2, v0
	v_mul_lo_u32 v6, s6, v0
	s_delay_alu instid0(VALU_DEP_2) | instskip(SKIP_1) | instid1(VALU_DEP_2)
	v_add_nc_u32_e32 v4, v5, v4
	v_mul_lo_u32 v5, s2, v0
	v_add_nc_u32_e32 v4, v4, v6
	s_delay_alu instid0(VALU_DEP_2) | instskip(NEXT) | instid1(VALU_DEP_2)
	v_mul_hi_u32 v6, v0, v5
	v_mul_lo_u32 v7, v0, v4
	v_mul_hi_u32 v8, v0, v4
	v_mul_hi_u32 v9, v1, v5
	v_mul_lo_u32 v5, v1, v5
	v_mul_hi_u32 v10, v1, v4
	v_mul_lo_u32 v4, v1, v4
	v_add_co_u32 v6, vcc_lo, v6, v7
	v_add_co_ci_u32_e32 v7, vcc_lo, 0, v8, vcc_lo
	s_delay_alu instid0(VALU_DEP_2) | instskip(NEXT) | instid1(VALU_DEP_2)
	v_add_co_u32 v5, vcc_lo, v6, v5
	v_add_co_ci_u32_e32 v5, vcc_lo, v7, v9, vcc_lo
	v_add_co_ci_u32_e32 v6, vcc_lo, 0, v10, vcc_lo
	s_delay_alu instid0(VALU_DEP_2) | instskip(NEXT) | instid1(VALU_DEP_2)
	v_add_co_u32 v4, vcc_lo, v5, v4
	v_add_co_ci_u32_e32 v5, vcc_lo, 0, v6, vcc_lo
	s_delay_alu instid0(VALU_DEP_2) | instskip(NEXT) | instid1(VALU_DEP_2)
	v_add_co_u32 v0, vcc_lo, v0, v4
	v_add_co_ci_u32_e32 v1, vcc_lo, v1, v5, vcc_lo
	s_delay_alu instid0(VALU_DEP_2) | instskip(SKIP_1) | instid1(VALU_DEP_3)
	v_mul_hi_u32 v4, s2, v0
	v_mul_lo_u32 v6, s6, v0
	v_mul_lo_u32 v5, s2, v1
	s_delay_alu instid0(VALU_DEP_1) | instskip(SKIP_1) | instid1(VALU_DEP_2)
	v_add_nc_u32_e32 v4, v4, v5
	v_mul_lo_u32 v5, s2, v0
	v_add_nc_u32_e32 v4, v4, v6
	s_delay_alu instid0(VALU_DEP_2) | instskip(NEXT) | instid1(VALU_DEP_2)
	v_mul_hi_u32 v6, v0, v5
	v_mul_lo_u32 v7, v0, v4
	v_mul_hi_u32 v8, v0, v4
	v_mul_hi_u32 v9, v1, v5
	v_mul_lo_u32 v5, v1, v5
	v_mul_hi_u32 v10, v1, v4
	v_mul_lo_u32 v4, v1, v4
	v_add_co_u32 v6, vcc_lo, v6, v7
	v_add_co_ci_u32_e32 v7, vcc_lo, 0, v8, vcc_lo
	s_delay_alu instid0(VALU_DEP_2) | instskip(NEXT) | instid1(VALU_DEP_2)
	v_add_co_u32 v5, vcc_lo, v6, v5
	v_add_co_ci_u32_e32 v5, vcc_lo, v7, v9, vcc_lo
	v_add_co_ci_u32_e32 v6, vcc_lo, 0, v10, vcc_lo
	s_delay_alu instid0(VALU_DEP_2) | instskip(NEXT) | instid1(VALU_DEP_2)
	v_add_co_u32 v4, vcc_lo, v5, v4
	v_add_co_ci_u32_e32 v5, vcc_lo, 0, v6, vcc_lo
	s_delay_alu instid0(VALU_DEP_2) | instskip(NEXT) | instid1(VALU_DEP_2)
	v_add_co_u32 v6, vcc_lo, v0, v4
	v_add_co_ci_u32_e32 v8, vcc_lo, v1, v5, vcc_lo
	s_delay_alu instid0(VALU_DEP_2) | instskip(SKIP_1) | instid1(VALU_DEP_3)
	v_mul_hi_u32 v9, v2, v6
	v_mad_u64_u32 v[4:5], null, v3, v6, 0
	v_mad_u64_u32 v[0:1], null, v2, v8, 0
	;; [unrolled: 1-line block ×3, first 2 shown]
	s_delay_alu instid0(VALU_DEP_2) | instskip(NEXT) | instid1(VALU_DEP_3)
	v_add_co_u32 v0, vcc_lo, v9, v0
	v_add_co_ci_u32_e32 v1, vcc_lo, 0, v1, vcc_lo
	s_delay_alu instid0(VALU_DEP_2) | instskip(NEXT) | instid1(VALU_DEP_2)
	v_add_co_u32 v0, vcc_lo, v0, v4
	v_add_co_ci_u32_e32 v0, vcc_lo, v1, v5, vcc_lo
	v_add_co_ci_u32_e32 v1, vcc_lo, 0, v7, vcc_lo
	s_delay_alu instid0(VALU_DEP_2) | instskip(NEXT) | instid1(VALU_DEP_2)
	v_add_co_u32 v4, vcc_lo, v0, v6
	v_add_co_ci_u32_e32 v5, vcc_lo, 0, v1, vcc_lo
	s_delay_alu instid0(VALU_DEP_2) | instskip(SKIP_1) | instid1(VALU_DEP_3)
	v_mul_lo_u32 v6, s5, v4
	v_mad_u64_u32 v[0:1], null, s4, v4, 0
	v_mul_lo_u32 v4, s4, v5
	s_delay_alu instid0(VALU_DEP_2) | instskip(NEXT) | instid1(VALU_DEP_2)
	v_sub_co_u32 v0, vcc_lo, v2, v0
	v_add3_u32 v1, v1, v4, v6
	s_delay_alu instid0(VALU_DEP_1) | instskip(NEXT) | instid1(VALU_DEP_1)
	v_sub_nc_u32_e32 v4, v3, v1
	v_subrev_co_ci_u32_e64 v2, s2, s5, v4, vcc_lo
	v_sub_co_ci_u32_e32 v1, vcc_lo, v3, v1, vcc_lo
	v_sub_co_u32 v3, vcc_lo, v0, s4
	s_delay_alu instid0(VALU_DEP_1) | instskip(SKIP_3) | instid1(VALU_DEP_3)
	v_subrev_co_ci_u32_e64 v4, s2, 0, v2, vcc_lo
	v_cmp_le_u32_e64 s2, s4, v0
	v_subrev_co_ci_u32_e32 v2, vcc_lo, s5, v2, vcc_lo
	v_cmp_le_u32_e32 vcc_lo, s5, v1
	v_cndmask_b32_e64 v5, 0, -1, s2
	v_cmp_le_u32_e64 s2, s4, v3
	v_cndmask_b32_e64 v8, 0, -1, vcc_lo
	v_cmp_eq_u32_e32 vcc_lo, s5, v4
	s_delay_alu instid0(VALU_DEP_3) | instskip(SKIP_1) | instid1(VALU_DEP_1)
	v_cndmask_b32_e64 v6, 0, -1, s2
	v_cmp_le_u32_e64 s2, s5, v4
	v_cndmask_b32_e64 v7, 0, -1, s2
	v_cmp_eq_u32_e64 s2, s5, v1
	s_delay_alu instid0(VALU_DEP_2) | instskip(SKIP_2) | instid1(VALU_DEP_3)
	v_cndmask_b32_e32 v6, v7, v6, vcc_lo
	v_sub_co_u32 v7, vcc_lo, v3, s4
	v_subrev_co_ci_u32_e32 v2, vcc_lo, 0, v2, vcc_lo
	v_cmp_ne_u32_e32 vcc_lo, 0, v6
	v_cndmask_b32_e64 v5, v8, v5, s2
	s_delay_alu instid0(VALU_DEP_3) | instskip(NEXT) | instid1(VALU_DEP_2)
	v_dual_cndmask_b32 v2, v4, v2 :: v_dual_cndmask_b32 v3, v3, v7
	v_cmp_ne_u32_e32 vcc_lo, 0, v5
	s_delay_alu instid0(VALU_DEP_2)
	v_dual_cndmask_b32 v1, v1, v2 :: v_dual_cndmask_b32 v0, v0, v3
                                        ; implicit-def: $vgpr2_vgpr3
.LBB15_3:
	s_and_not1_saveexec_b32 s2, s3
	s_cbranch_execz .LBB15_5
; %bb.4:
	v_cvt_f32_u32_e32 v0, s4
	s_sub_i32 s3, 0, s4
	s_delay_alu instid0(VALU_DEP_1) | instskip(SKIP_2) | instid1(VALU_DEP_1)
	v_rcp_iflag_f32_e32 v0, v0
	s_waitcnt_depctr 0xfff
	v_mul_f32_e32 v0, 0x4f7ffffe, v0
	v_cvt_u32_f32_e32 v0, v0
	s_delay_alu instid0(VALU_DEP_1) | instskip(NEXT) | instid1(VALU_DEP_1)
	v_mul_lo_u32 v1, s3, v0
	v_mul_hi_u32 v1, v0, v1
	s_delay_alu instid0(VALU_DEP_1) | instskip(NEXT) | instid1(VALU_DEP_1)
	v_add_nc_u32_e32 v0, v0, v1
	v_mul_hi_u32 v0, v2, v0
	s_delay_alu instid0(VALU_DEP_1) | instskip(NEXT) | instid1(VALU_DEP_1)
	v_mul_lo_u32 v0, v0, s4
	v_sub_nc_u32_e32 v0, v2, v0
	s_delay_alu instid0(VALU_DEP_1) | instskip(SKIP_1) | instid1(VALU_DEP_2)
	v_subrev_nc_u32_e32 v1, s4, v0
	v_cmp_le_u32_e32 vcc_lo, s4, v0
	v_cndmask_b32_e32 v0, v0, v1, vcc_lo
	s_delay_alu instid0(VALU_DEP_1) | instskip(SKIP_1) | instid1(VALU_DEP_2)
	v_subrev_nc_u32_e32 v1, s4, v0
	v_cmp_le_u32_e32 vcc_lo, s4, v0
	v_dual_cndmask_b32 v0, v0, v1 :: v_dual_mov_b32 v1, 0
.LBB15_5:
	s_or_b32 exec_lo, exec_lo, s2
	s_clause 0x2
	s_load_b256 s[4:11], s[0:1], 0x18
	s_load_b128 s[16:19], s[0:1], 0x70
	s_load_b64 s[2:3], s[0:1], 0x68
	s_waitcnt lgkmcnt(0)
	s_add_i32 s4, s16, s4
	s_sub_i32 s5, 0, s16
	s_add_i32 s4, s4, -1
	s_max_i32 s12, s16, 0
	v_maxmin_i32 v2, s16, v0, s4
	s_max_i32 s4, s5, 0
	s_add_i32 s15, s15, s18
	s_sub_i32 s4, s4, s12
	s_mul_i32 s7, s7, s15
	v_add_nc_u32_e32 v4, s4, v2
	s_load_b64 s[4:5], s[0:1], 0x0
	s_add_i32 s14, s14, s17
	v_mul_lo_u32 v1, s2, v1
	s_mul_i32 s9, s9, s14
	v_ashrrev_i32_e32 v5, 31, v4
	v_mul_lo_u32 v6, s11, v4
	v_mad_u64_u32 v[2:3], null, s10, v4, 0
	s_delay_alu instid0(VALU_DEP_3)
	v_mul_lo_u32 v4, s10, v5
	s_mul_hi_u32 s10, s6, s15
	s_mul_i32 s6, s6, s15
	s_add_i32 s7, s10, s7
	s_mul_hi_u32 s10, s8, s14
	s_lshl_b64 s[6:7], s[6:7], 3
	s_mul_i32 s8, s8, s14
	s_delay_alu instid0(VALU_DEP_1)
	v_add3_u32 v3, v3, v4, v6
	v_mul_lo_u32 v6, s3, v0
	v_mad_u64_u32 v[4:5], null, s2, v0, 0
	s_waitcnt lgkmcnt(0)
	s_add_u32 s6, s4, s6
	s_addc_u32 s7, s5, s7
	s_add_i32 s9, s10, s9
	v_lshlrev_b64 v[2:3], 3, v[2:3]
	s_lshl_b64 s[4:5], s[8:9], 3
	s_delay_alu instid0(SALU_CYCLE_1) | instskip(SKIP_2) | instid1(VALU_DEP_2)
	s_add_u32 s4, s6, s4
	s_addc_u32 s5, s7, s5
	v_add3_u32 v5, v5, v1, v6
	v_add_co_u32 v2, vcc_lo, s4, v2
	v_add_co_ci_u32_e32 v3, vcc_lo, s5, v3, vcc_lo
	s_delay_alu instid0(VALU_DEP_3)
	v_lshlrev_b64 v[0:1], 3, v[4:5]
	global_load_b64 v[2:3], v[2:3], off
	s_clause 0x1
	s_load_b128 s[4:7], s[0:1], 0x58
	s_load_b64 s[0:1], s[0:1], 0x38
	s_waitcnt lgkmcnt(0)
	s_mul_i32 s5, s5, s15
	s_mul_hi_u32 s8, s4, s15
	s_mul_i32 s2, s4, s15
	s_add_i32 s3, s8, s5
	s_mul_hi_u32 s4, s6, s14
	s_lshl_b64 s[2:3], s[2:3], 3
	s_delay_alu instid0(SALU_CYCLE_1) | instskip(SKIP_4) | instid1(SALU_CYCLE_1)
	s_add_u32 s2, s0, s2
	s_mul_i32 s0, s7, s14
	s_addc_u32 s3, s1, s3
	s_add_i32 s1, s4, s0
	s_mul_i32 s0, s6, s14
	s_lshl_b64 s[0:1], s[0:1], 3
	s_delay_alu instid0(SALU_CYCLE_1)
	s_add_u32 s0, s2, s0
	s_addc_u32 s1, s3, s1
	v_add_co_u32 v0, vcc_lo, s0, v0
	v_add_co_ci_u32_e32 v1, vcc_lo, s1, v1, vcc_lo
	s_waitcnt vmcnt(0)
	global_store_b64 v[0:1], v[2:3], off
.LBB15_6:
	s_nop 0
	s_sendmsg sendmsg(MSG_DEALLOC_VGPRS)
	s_endpgm
	.section	.rodata,"a",@progbits
	.p2align	6, 0x0
	.amdhsa_kernel _ZN2at6native12_GLOBAL__N_132replication_pad_forward_kernel1dIlEEvN5torch10headeronly6detail27GenericPackedTensorAccessorINS5_14TensorAccessorIN3c108ArrayRefIlEEKT_Lm2ENS4_16DefaultPtrTraitsElEENS_6detail16IndexBoundsCheckILm3ElEESC_Lm3ESD_lEENS6_INS7_ISA_SB_Lm2ESD_lEESH_SB_Lm3ESD_lEEiii
		.amdhsa_group_segment_fixed_size 0
		.amdhsa_private_segment_fixed_size 0
		.amdhsa_kernarg_size 384
		.amdhsa_user_sgpr_count 13
		.amdhsa_user_sgpr_dispatch_ptr 0
		.amdhsa_user_sgpr_queue_ptr 0
		.amdhsa_user_sgpr_kernarg_segment_ptr 1
		.amdhsa_user_sgpr_dispatch_id 0
		.amdhsa_user_sgpr_private_segment_size 0
		.amdhsa_wavefront_size32 1
		.amdhsa_uses_dynamic_stack 0
		.amdhsa_enable_private_segment 0
		.amdhsa_system_sgpr_workgroup_id_x 1
		.amdhsa_system_sgpr_workgroup_id_y 1
		.amdhsa_system_sgpr_workgroup_id_z 1
		.amdhsa_system_sgpr_workgroup_info 0
		.amdhsa_system_vgpr_workitem_id 0
		.amdhsa_next_free_vgpr 11
		.amdhsa_next_free_sgpr 20
		.amdhsa_reserve_vcc 1
		.amdhsa_float_round_mode_32 0
		.amdhsa_float_round_mode_16_64 0
		.amdhsa_float_denorm_mode_32 3
		.amdhsa_float_denorm_mode_16_64 3
		.amdhsa_dx10_clamp 1
		.amdhsa_ieee_mode 1
		.amdhsa_fp16_overflow 0
		.amdhsa_workgroup_processor_mode 1
		.amdhsa_memory_ordered 1
		.amdhsa_forward_progress 0
		.amdhsa_shared_vgpr_count 0
		.amdhsa_exception_fp_ieee_invalid_op 0
		.amdhsa_exception_fp_denorm_src 0
		.amdhsa_exception_fp_ieee_div_zero 0
		.amdhsa_exception_fp_ieee_overflow 0
		.amdhsa_exception_fp_ieee_underflow 0
		.amdhsa_exception_fp_ieee_inexact 0
		.amdhsa_exception_int_div_zero 0
	.end_amdhsa_kernel
	.section	.text._ZN2at6native12_GLOBAL__N_132replication_pad_forward_kernel1dIlEEvN5torch10headeronly6detail27GenericPackedTensorAccessorINS5_14TensorAccessorIN3c108ArrayRefIlEEKT_Lm2ENS4_16DefaultPtrTraitsElEENS_6detail16IndexBoundsCheckILm3ElEESC_Lm3ESD_lEENS6_INS7_ISA_SB_Lm2ESD_lEESH_SB_Lm3ESD_lEEiii,"axG",@progbits,_ZN2at6native12_GLOBAL__N_132replication_pad_forward_kernel1dIlEEvN5torch10headeronly6detail27GenericPackedTensorAccessorINS5_14TensorAccessorIN3c108ArrayRefIlEEKT_Lm2ENS4_16DefaultPtrTraitsElEENS_6detail16IndexBoundsCheckILm3ElEESC_Lm3ESD_lEENS6_INS7_ISA_SB_Lm2ESD_lEESH_SB_Lm3ESD_lEEiii,comdat
.Lfunc_end15:
	.size	_ZN2at6native12_GLOBAL__N_132replication_pad_forward_kernel1dIlEEvN5torch10headeronly6detail27GenericPackedTensorAccessorINS5_14TensorAccessorIN3c108ArrayRefIlEEKT_Lm2ENS4_16DefaultPtrTraitsElEENS_6detail16IndexBoundsCheckILm3ElEESC_Lm3ESD_lEENS6_INS7_ISA_SB_Lm2ESD_lEESH_SB_Lm3ESD_lEEiii, .Lfunc_end15-_ZN2at6native12_GLOBAL__N_132replication_pad_forward_kernel1dIlEEvN5torch10headeronly6detail27GenericPackedTensorAccessorINS5_14TensorAccessorIN3c108ArrayRefIlEEKT_Lm2ENS4_16DefaultPtrTraitsElEENS_6detail16IndexBoundsCheckILm3ElEESC_Lm3ESD_lEENS6_INS7_ISA_SB_Lm2ESD_lEESH_SB_Lm3ESD_lEEiii
                                        ; -- End function
	.section	.AMDGPU.csdata,"",@progbits
; Kernel info:
; codeLenInByte = 1360
; NumSgprs: 22
; NumVgprs: 11
; ScratchSize: 0
; MemoryBound: 0
; FloatMode: 240
; IeeeMode: 1
; LDSByteSize: 0 bytes/workgroup (compile time only)
; SGPRBlocks: 2
; VGPRBlocks: 1
; NumSGPRsForWavesPerEU: 22
; NumVGPRsForWavesPerEU: 11
; Occupancy: 16
; WaveLimiterHint : 1
; COMPUTE_PGM_RSRC2:SCRATCH_EN: 0
; COMPUTE_PGM_RSRC2:USER_SGPR: 13
; COMPUTE_PGM_RSRC2:TRAP_HANDLER: 0
; COMPUTE_PGM_RSRC2:TGID_X_EN: 1
; COMPUTE_PGM_RSRC2:TGID_Y_EN: 1
; COMPUTE_PGM_RSRC2:TGID_Z_EN: 1
; COMPUTE_PGM_RSRC2:TIDIG_COMP_CNT: 0
	.section	.text._ZN2at6native12_GLOBAL__N_132replication_pad_forward_kernel1dIsEEvN5torch10headeronly6detail27GenericPackedTensorAccessorINS5_14TensorAccessorIN3c108ArrayRefIlEEKT_Lm2ENS4_16DefaultPtrTraitsElEENS_6detail16IndexBoundsCheckILm3ElEESC_Lm3ESD_lEENS6_INS7_ISA_SB_Lm2ESD_lEESH_SB_Lm3ESD_lEEiii,"axG",@progbits,_ZN2at6native12_GLOBAL__N_132replication_pad_forward_kernel1dIsEEvN5torch10headeronly6detail27GenericPackedTensorAccessorINS5_14TensorAccessorIN3c108ArrayRefIlEEKT_Lm2ENS4_16DefaultPtrTraitsElEENS_6detail16IndexBoundsCheckILm3ElEESC_Lm3ESD_lEENS6_INS7_ISA_SB_Lm2ESD_lEESH_SB_Lm3ESD_lEEiii,comdat
	.globl	_ZN2at6native12_GLOBAL__N_132replication_pad_forward_kernel1dIsEEvN5torch10headeronly6detail27GenericPackedTensorAccessorINS5_14TensorAccessorIN3c108ArrayRefIlEEKT_Lm2ENS4_16DefaultPtrTraitsElEENS_6detail16IndexBoundsCheckILm3ElEESC_Lm3ESD_lEENS6_INS7_ISA_SB_Lm2ESD_lEESH_SB_Lm3ESD_lEEiii ; -- Begin function _ZN2at6native12_GLOBAL__N_132replication_pad_forward_kernel1dIsEEvN5torch10headeronly6detail27GenericPackedTensorAccessorINS5_14TensorAccessorIN3c108ArrayRefIlEEKT_Lm2ENS4_16DefaultPtrTraitsElEENS_6detail16IndexBoundsCheckILm3ElEESC_Lm3ESD_lEENS6_INS7_ISA_SB_Lm2ESD_lEESH_SB_Lm3ESD_lEEiii
	.p2align	8
	.type	_ZN2at6native12_GLOBAL__N_132replication_pad_forward_kernel1dIsEEvN5torch10headeronly6detail27GenericPackedTensorAccessorINS5_14TensorAccessorIN3c108ArrayRefIlEEKT_Lm2ENS4_16DefaultPtrTraitsElEENS_6detail16IndexBoundsCheckILm3ElEESC_Lm3ESD_lEENS6_INS7_ISA_SB_Lm2ESD_lEESH_SB_Lm3ESD_lEEiii,@function
_ZN2at6native12_GLOBAL__N_132replication_pad_forward_kernel1dIsEEvN5torch10headeronly6detail27GenericPackedTensorAccessorINS5_14TensorAccessorIN3c108ArrayRefIlEEKT_Lm2ENS4_16DefaultPtrTraitsElEENS_6detail16IndexBoundsCheckILm3ElEESC_Lm3ESD_lEENS6_INS7_ISA_SB_Lm2ESD_lEESH_SB_Lm3ESD_lEEiii: ; @_ZN2at6native12_GLOBAL__N_132replication_pad_forward_kernel1dIsEEvN5torch10headeronly6detail27GenericPackedTensorAccessorINS5_14TensorAccessorIN3c108ArrayRefIlEEKT_Lm2ENS4_16DefaultPtrTraitsElEENS_6detail16IndexBoundsCheckILm3ElEESC_Lm3ESD_lEENS6_INS7_ISA_SB_Lm2ESD_lEESH_SB_Lm3ESD_lEEiii
; %bb.0:
	s_clause 0x1
	s_load_b32 s2, s[0:1], 0x8c
	s_load_b64 s[4:5], s[0:1], 0x50
	v_mov_b32_e32 v4, 0
	s_delay_alu instid0(VALU_DEP_1)
	v_mov_b32_e32 v1, v4
	s_waitcnt lgkmcnt(0)
	s_and_b32 s2, s2, 0xffff
	s_delay_alu instid0(VALU_DEP_1) | instid1(SALU_CYCLE_1)
	v_mad_u64_u32 v[2:3], null, s2, s13, v[0:1]
	s_mov_b32 s2, exec_lo
	s_delay_alu instid0(VALU_DEP_1)
	v_cmpx_gt_i64_e64 s[4:5], v[2:3]
	s_cbranch_execz .LBB16_6
; %bb.1:
	v_or_b32_e32 v5, s5, v3
                                        ; implicit-def: $vgpr0_vgpr1
	s_mov_b32 s2, exec_lo
	s_delay_alu instid0(VALU_DEP_1)
	v_cmpx_ne_u64_e32 0, v[4:5]
	s_xor_b32 s3, exec_lo, s2
	s_cbranch_execz .LBB16_3
; %bb.2:
	v_cvt_f32_u32_e32 v0, s4
	v_cvt_f32_u32_e32 v1, s5
	s_sub_u32 s2, 0, s4
	s_subb_u32 s6, 0, s5
	s_delay_alu instid0(VALU_DEP_1) | instskip(NEXT) | instid1(VALU_DEP_1)
	v_fmamk_f32 v0, v1, 0x4f800000, v0
	v_rcp_f32_e32 v0, v0
	s_waitcnt_depctr 0xfff
	v_mul_f32_e32 v0, 0x5f7ffffc, v0
	s_delay_alu instid0(VALU_DEP_1) | instskip(NEXT) | instid1(VALU_DEP_1)
	v_mul_f32_e32 v1, 0x2f800000, v0
	v_trunc_f32_e32 v1, v1
	s_delay_alu instid0(VALU_DEP_1) | instskip(SKIP_1) | instid1(VALU_DEP_2)
	v_fmamk_f32 v0, v1, 0xcf800000, v0
	v_cvt_u32_f32_e32 v1, v1
	v_cvt_u32_f32_e32 v0, v0
	s_delay_alu instid0(VALU_DEP_2) | instskip(NEXT) | instid1(VALU_DEP_2)
	v_mul_lo_u32 v4, s2, v1
	v_mul_hi_u32 v5, s2, v0
	v_mul_lo_u32 v6, s6, v0
	s_delay_alu instid0(VALU_DEP_2) | instskip(SKIP_1) | instid1(VALU_DEP_2)
	v_add_nc_u32_e32 v4, v5, v4
	v_mul_lo_u32 v5, s2, v0
	v_add_nc_u32_e32 v4, v4, v6
	s_delay_alu instid0(VALU_DEP_2) | instskip(NEXT) | instid1(VALU_DEP_2)
	v_mul_hi_u32 v6, v0, v5
	v_mul_lo_u32 v7, v0, v4
	v_mul_hi_u32 v8, v0, v4
	v_mul_hi_u32 v9, v1, v5
	v_mul_lo_u32 v5, v1, v5
	v_mul_hi_u32 v10, v1, v4
	v_mul_lo_u32 v4, v1, v4
	v_add_co_u32 v6, vcc_lo, v6, v7
	v_add_co_ci_u32_e32 v7, vcc_lo, 0, v8, vcc_lo
	s_delay_alu instid0(VALU_DEP_2) | instskip(NEXT) | instid1(VALU_DEP_2)
	v_add_co_u32 v5, vcc_lo, v6, v5
	v_add_co_ci_u32_e32 v5, vcc_lo, v7, v9, vcc_lo
	v_add_co_ci_u32_e32 v6, vcc_lo, 0, v10, vcc_lo
	s_delay_alu instid0(VALU_DEP_2) | instskip(NEXT) | instid1(VALU_DEP_2)
	v_add_co_u32 v4, vcc_lo, v5, v4
	v_add_co_ci_u32_e32 v5, vcc_lo, 0, v6, vcc_lo
	s_delay_alu instid0(VALU_DEP_2) | instskip(NEXT) | instid1(VALU_DEP_2)
	v_add_co_u32 v0, vcc_lo, v0, v4
	v_add_co_ci_u32_e32 v1, vcc_lo, v1, v5, vcc_lo
	s_delay_alu instid0(VALU_DEP_2) | instskip(SKIP_1) | instid1(VALU_DEP_3)
	v_mul_hi_u32 v4, s2, v0
	v_mul_lo_u32 v6, s6, v0
	v_mul_lo_u32 v5, s2, v1
	s_delay_alu instid0(VALU_DEP_1) | instskip(SKIP_1) | instid1(VALU_DEP_2)
	v_add_nc_u32_e32 v4, v4, v5
	v_mul_lo_u32 v5, s2, v0
	v_add_nc_u32_e32 v4, v4, v6
	s_delay_alu instid0(VALU_DEP_2) | instskip(NEXT) | instid1(VALU_DEP_2)
	v_mul_hi_u32 v6, v0, v5
	v_mul_lo_u32 v7, v0, v4
	v_mul_hi_u32 v8, v0, v4
	v_mul_hi_u32 v9, v1, v5
	v_mul_lo_u32 v5, v1, v5
	v_mul_hi_u32 v10, v1, v4
	v_mul_lo_u32 v4, v1, v4
	v_add_co_u32 v6, vcc_lo, v6, v7
	v_add_co_ci_u32_e32 v7, vcc_lo, 0, v8, vcc_lo
	s_delay_alu instid0(VALU_DEP_2) | instskip(NEXT) | instid1(VALU_DEP_2)
	v_add_co_u32 v5, vcc_lo, v6, v5
	v_add_co_ci_u32_e32 v5, vcc_lo, v7, v9, vcc_lo
	v_add_co_ci_u32_e32 v6, vcc_lo, 0, v10, vcc_lo
	s_delay_alu instid0(VALU_DEP_2) | instskip(NEXT) | instid1(VALU_DEP_2)
	v_add_co_u32 v4, vcc_lo, v5, v4
	v_add_co_ci_u32_e32 v5, vcc_lo, 0, v6, vcc_lo
	s_delay_alu instid0(VALU_DEP_2) | instskip(NEXT) | instid1(VALU_DEP_2)
	v_add_co_u32 v6, vcc_lo, v0, v4
	v_add_co_ci_u32_e32 v8, vcc_lo, v1, v5, vcc_lo
	s_delay_alu instid0(VALU_DEP_2) | instskip(SKIP_1) | instid1(VALU_DEP_3)
	v_mul_hi_u32 v9, v2, v6
	v_mad_u64_u32 v[4:5], null, v3, v6, 0
	v_mad_u64_u32 v[0:1], null, v2, v8, 0
	v_mad_u64_u32 v[6:7], null, v3, v8, 0
	s_delay_alu instid0(VALU_DEP_2) | instskip(NEXT) | instid1(VALU_DEP_3)
	v_add_co_u32 v0, vcc_lo, v9, v0
	v_add_co_ci_u32_e32 v1, vcc_lo, 0, v1, vcc_lo
	s_delay_alu instid0(VALU_DEP_2) | instskip(NEXT) | instid1(VALU_DEP_2)
	v_add_co_u32 v0, vcc_lo, v0, v4
	v_add_co_ci_u32_e32 v0, vcc_lo, v1, v5, vcc_lo
	v_add_co_ci_u32_e32 v1, vcc_lo, 0, v7, vcc_lo
	s_delay_alu instid0(VALU_DEP_2) | instskip(NEXT) | instid1(VALU_DEP_2)
	v_add_co_u32 v4, vcc_lo, v0, v6
	v_add_co_ci_u32_e32 v5, vcc_lo, 0, v1, vcc_lo
	s_delay_alu instid0(VALU_DEP_2) | instskip(SKIP_1) | instid1(VALU_DEP_3)
	v_mul_lo_u32 v6, s5, v4
	v_mad_u64_u32 v[0:1], null, s4, v4, 0
	v_mul_lo_u32 v4, s4, v5
	s_delay_alu instid0(VALU_DEP_2) | instskip(NEXT) | instid1(VALU_DEP_2)
	v_sub_co_u32 v0, vcc_lo, v2, v0
	v_add3_u32 v1, v1, v4, v6
	s_delay_alu instid0(VALU_DEP_1) | instskip(NEXT) | instid1(VALU_DEP_1)
	v_sub_nc_u32_e32 v4, v3, v1
	v_subrev_co_ci_u32_e64 v2, s2, s5, v4, vcc_lo
	v_sub_co_ci_u32_e32 v1, vcc_lo, v3, v1, vcc_lo
	v_sub_co_u32 v3, vcc_lo, v0, s4
	s_delay_alu instid0(VALU_DEP_1) | instskip(SKIP_3) | instid1(VALU_DEP_3)
	v_subrev_co_ci_u32_e64 v4, s2, 0, v2, vcc_lo
	v_cmp_le_u32_e64 s2, s4, v0
	v_subrev_co_ci_u32_e32 v2, vcc_lo, s5, v2, vcc_lo
	v_cmp_le_u32_e32 vcc_lo, s5, v1
	v_cndmask_b32_e64 v5, 0, -1, s2
	v_cmp_le_u32_e64 s2, s4, v3
	v_cndmask_b32_e64 v8, 0, -1, vcc_lo
	v_cmp_eq_u32_e32 vcc_lo, s5, v4
	s_delay_alu instid0(VALU_DEP_3) | instskip(SKIP_1) | instid1(VALU_DEP_1)
	v_cndmask_b32_e64 v6, 0, -1, s2
	v_cmp_le_u32_e64 s2, s5, v4
	v_cndmask_b32_e64 v7, 0, -1, s2
	v_cmp_eq_u32_e64 s2, s5, v1
	s_delay_alu instid0(VALU_DEP_2) | instskip(SKIP_2) | instid1(VALU_DEP_3)
	v_cndmask_b32_e32 v6, v7, v6, vcc_lo
	v_sub_co_u32 v7, vcc_lo, v3, s4
	v_subrev_co_ci_u32_e32 v2, vcc_lo, 0, v2, vcc_lo
	v_cmp_ne_u32_e32 vcc_lo, 0, v6
	v_cndmask_b32_e64 v5, v8, v5, s2
	s_delay_alu instid0(VALU_DEP_3) | instskip(NEXT) | instid1(VALU_DEP_2)
	v_dual_cndmask_b32 v2, v4, v2 :: v_dual_cndmask_b32 v3, v3, v7
	v_cmp_ne_u32_e32 vcc_lo, 0, v5
	s_delay_alu instid0(VALU_DEP_2)
	v_dual_cndmask_b32 v1, v1, v2 :: v_dual_cndmask_b32 v0, v0, v3
                                        ; implicit-def: $vgpr2_vgpr3
.LBB16_3:
	s_and_not1_saveexec_b32 s2, s3
	s_cbranch_execz .LBB16_5
; %bb.4:
	v_cvt_f32_u32_e32 v0, s4
	s_sub_i32 s3, 0, s4
	s_delay_alu instid0(VALU_DEP_1) | instskip(SKIP_2) | instid1(VALU_DEP_1)
	v_rcp_iflag_f32_e32 v0, v0
	s_waitcnt_depctr 0xfff
	v_mul_f32_e32 v0, 0x4f7ffffe, v0
	v_cvt_u32_f32_e32 v0, v0
	s_delay_alu instid0(VALU_DEP_1) | instskip(NEXT) | instid1(VALU_DEP_1)
	v_mul_lo_u32 v1, s3, v0
	v_mul_hi_u32 v1, v0, v1
	s_delay_alu instid0(VALU_DEP_1) | instskip(NEXT) | instid1(VALU_DEP_1)
	v_add_nc_u32_e32 v0, v0, v1
	v_mul_hi_u32 v0, v2, v0
	s_delay_alu instid0(VALU_DEP_1) | instskip(NEXT) | instid1(VALU_DEP_1)
	v_mul_lo_u32 v0, v0, s4
	v_sub_nc_u32_e32 v0, v2, v0
	s_delay_alu instid0(VALU_DEP_1) | instskip(SKIP_1) | instid1(VALU_DEP_2)
	v_subrev_nc_u32_e32 v1, s4, v0
	v_cmp_le_u32_e32 vcc_lo, s4, v0
	v_cndmask_b32_e32 v0, v0, v1, vcc_lo
	s_delay_alu instid0(VALU_DEP_1) | instskip(SKIP_1) | instid1(VALU_DEP_2)
	v_subrev_nc_u32_e32 v1, s4, v0
	v_cmp_le_u32_e32 vcc_lo, s4, v0
	v_dual_cndmask_b32 v0, v0, v1 :: v_dual_mov_b32 v1, 0
.LBB16_5:
	s_or_b32 exec_lo, exec_lo, s2
	s_clause 0x2
	s_load_b256 s[4:11], s[0:1], 0x18
	s_load_b128 s[16:19], s[0:1], 0x70
	s_load_b64 s[2:3], s[0:1], 0x68
	s_waitcnt lgkmcnt(0)
	s_add_i32 s4, s16, s4
	s_sub_i32 s5, 0, s16
	s_add_i32 s4, s4, -1
	s_max_i32 s12, s16, 0
	v_maxmin_i32 v2, s16, v0, s4
	s_max_i32 s4, s5, 0
	s_add_i32 s15, s15, s18
	s_sub_i32 s4, s4, s12
	s_mul_i32 s7, s7, s15
	v_add_nc_u32_e32 v4, s4, v2
	s_load_b64 s[4:5], s[0:1], 0x0
	s_add_i32 s14, s14, s17
	s_delay_alu instid0(SALU_CYCLE_1) | instskip(NEXT) | instid1(VALU_DEP_1)
	s_mul_i32 s9, s9, s14
	v_ashrrev_i32_e32 v5, 31, v4
	v_mul_lo_u32 v6, s11, v4
	v_mad_u64_u32 v[2:3], null, s10, v4, 0
	s_delay_alu instid0(VALU_DEP_3)
	v_mul_lo_u32 v4, s10, v5
	s_mul_hi_u32 s10, s6, s15
	s_mul_i32 s6, s6, s15
	s_add_i32 s7, s10, s7
	s_mul_hi_u32 s10, s8, s14
	s_lshl_b64 s[6:7], s[6:7], 1
	s_mul_i32 s8, s8, s14
	v_mul_lo_u32 v5, s2, v1
	v_add3_u32 v3, v3, v4, v6
	v_mul_lo_u32 v4, s3, v0
	s_waitcnt lgkmcnt(0)
	s_add_u32 s6, s4, s6
	s_addc_u32 s7, s5, s7
	s_add_i32 s9, s10, s9
	v_lshlrev_b64 v[2:3], 1, v[2:3]
	s_lshl_b64 s[4:5], s[8:9], 1
	s_delay_alu instid0(SALU_CYCLE_1) | instskip(SKIP_1) | instid1(VALU_DEP_1)
	s_add_u32 s4, s6, s4
	s_addc_u32 s5, s7, s5
	v_add_co_u32 v2, vcc_lo, s4, v2
	s_delay_alu instid0(VALU_DEP_2)
	v_add_co_ci_u32_e32 v3, vcc_lo, s5, v3, vcc_lo
	global_load_u16 v3, v[2:3], off
	s_clause 0x1
	s_load_b128 s[4:7], s[0:1], 0x58
	s_load_b64 s[0:1], s[0:1], 0x38
	v_mad_u64_u32 v[1:2], null, s2, v0, 0
	s_delay_alu instid0(VALU_DEP_1) | instskip(NEXT) | instid1(VALU_DEP_1)
	v_add3_u32 v2, v2, v5, v4
	v_lshlrev_b64 v[0:1], 1, v[1:2]
	s_waitcnt lgkmcnt(0)
	s_mul_i32 s5, s5, s15
	s_mul_hi_u32 s8, s4, s15
	s_mul_i32 s2, s4, s15
	s_add_i32 s3, s8, s5
	s_mul_hi_u32 s4, s6, s14
	s_lshl_b64 s[2:3], s[2:3], 1
	s_delay_alu instid0(SALU_CYCLE_1) | instskip(SKIP_4) | instid1(SALU_CYCLE_1)
	s_add_u32 s2, s0, s2
	s_mul_i32 s0, s7, s14
	s_addc_u32 s3, s1, s3
	s_add_i32 s1, s4, s0
	s_mul_i32 s0, s6, s14
	s_lshl_b64 s[0:1], s[0:1], 1
	s_delay_alu instid0(SALU_CYCLE_1)
	s_add_u32 s0, s2, s0
	s_addc_u32 s1, s3, s1
	v_add_co_u32 v0, vcc_lo, s0, v0
	v_add_co_ci_u32_e32 v1, vcc_lo, s1, v1, vcc_lo
	s_waitcnt vmcnt(0)
	global_store_b16 v[0:1], v3, off
.LBB16_6:
	s_nop 0
	s_sendmsg sendmsg(MSG_DEALLOC_VGPRS)
	s_endpgm
	.section	.rodata,"a",@progbits
	.p2align	6, 0x0
	.amdhsa_kernel _ZN2at6native12_GLOBAL__N_132replication_pad_forward_kernel1dIsEEvN5torch10headeronly6detail27GenericPackedTensorAccessorINS5_14TensorAccessorIN3c108ArrayRefIlEEKT_Lm2ENS4_16DefaultPtrTraitsElEENS_6detail16IndexBoundsCheckILm3ElEESC_Lm3ESD_lEENS6_INS7_ISA_SB_Lm2ESD_lEESH_SB_Lm3ESD_lEEiii
		.amdhsa_group_segment_fixed_size 0
		.amdhsa_private_segment_fixed_size 0
		.amdhsa_kernarg_size 384
		.amdhsa_user_sgpr_count 13
		.amdhsa_user_sgpr_dispatch_ptr 0
		.amdhsa_user_sgpr_queue_ptr 0
		.amdhsa_user_sgpr_kernarg_segment_ptr 1
		.amdhsa_user_sgpr_dispatch_id 0
		.amdhsa_user_sgpr_private_segment_size 0
		.amdhsa_wavefront_size32 1
		.amdhsa_uses_dynamic_stack 0
		.amdhsa_enable_private_segment 0
		.amdhsa_system_sgpr_workgroup_id_x 1
		.amdhsa_system_sgpr_workgroup_id_y 1
		.amdhsa_system_sgpr_workgroup_id_z 1
		.amdhsa_system_sgpr_workgroup_info 0
		.amdhsa_system_vgpr_workitem_id 0
		.amdhsa_next_free_vgpr 11
		.amdhsa_next_free_sgpr 20
		.amdhsa_reserve_vcc 1
		.amdhsa_float_round_mode_32 0
		.amdhsa_float_round_mode_16_64 0
		.amdhsa_float_denorm_mode_32 3
		.amdhsa_float_denorm_mode_16_64 3
		.amdhsa_dx10_clamp 1
		.amdhsa_ieee_mode 1
		.amdhsa_fp16_overflow 0
		.amdhsa_workgroup_processor_mode 1
		.amdhsa_memory_ordered 1
		.amdhsa_forward_progress 0
		.amdhsa_shared_vgpr_count 0
		.amdhsa_exception_fp_ieee_invalid_op 0
		.amdhsa_exception_fp_denorm_src 0
		.amdhsa_exception_fp_ieee_div_zero 0
		.amdhsa_exception_fp_ieee_overflow 0
		.amdhsa_exception_fp_ieee_underflow 0
		.amdhsa_exception_fp_ieee_inexact 0
		.amdhsa_exception_int_div_zero 0
	.end_amdhsa_kernel
	.section	.text._ZN2at6native12_GLOBAL__N_132replication_pad_forward_kernel1dIsEEvN5torch10headeronly6detail27GenericPackedTensorAccessorINS5_14TensorAccessorIN3c108ArrayRefIlEEKT_Lm2ENS4_16DefaultPtrTraitsElEENS_6detail16IndexBoundsCheckILm3ElEESC_Lm3ESD_lEENS6_INS7_ISA_SB_Lm2ESD_lEESH_SB_Lm3ESD_lEEiii,"axG",@progbits,_ZN2at6native12_GLOBAL__N_132replication_pad_forward_kernel1dIsEEvN5torch10headeronly6detail27GenericPackedTensorAccessorINS5_14TensorAccessorIN3c108ArrayRefIlEEKT_Lm2ENS4_16DefaultPtrTraitsElEENS_6detail16IndexBoundsCheckILm3ElEESC_Lm3ESD_lEENS6_INS7_ISA_SB_Lm2ESD_lEESH_SB_Lm3ESD_lEEiii,comdat
.Lfunc_end16:
	.size	_ZN2at6native12_GLOBAL__N_132replication_pad_forward_kernel1dIsEEvN5torch10headeronly6detail27GenericPackedTensorAccessorINS5_14TensorAccessorIN3c108ArrayRefIlEEKT_Lm2ENS4_16DefaultPtrTraitsElEENS_6detail16IndexBoundsCheckILm3ElEESC_Lm3ESD_lEENS6_INS7_ISA_SB_Lm2ESD_lEESH_SB_Lm3ESD_lEEiii, .Lfunc_end16-_ZN2at6native12_GLOBAL__N_132replication_pad_forward_kernel1dIsEEvN5torch10headeronly6detail27GenericPackedTensorAccessorINS5_14TensorAccessorIN3c108ArrayRefIlEEKT_Lm2ENS4_16DefaultPtrTraitsElEENS_6detail16IndexBoundsCheckILm3ElEESC_Lm3ESD_lEENS6_INS7_ISA_SB_Lm2ESD_lEESH_SB_Lm3ESD_lEEiii
                                        ; -- End function
	.section	.AMDGPU.csdata,"",@progbits
; Kernel info:
; codeLenInByte = 1364
; NumSgprs: 22
; NumVgprs: 11
; ScratchSize: 0
; MemoryBound: 0
; FloatMode: 240
; IeeeMode: 1
; LDSByteSize: 0 bytes/workgroup (compile time only)
; SGPRBlocks: 2
; VGPRBlocks: 1
; NumSGPRsForWavesPerEU: 22
; NumVGPRsForWavesPerEU: 11
; Occupancy: 16
; WaveLimiterHint : 1
; COMPUTE_PGM_RSRC2:SCRATCH_EN: 0
; COMPUTE_PGM_RSRC2:USER_SGPR: 13
; COMPUTE_PGM_RSRC2:TRAP_HANDLER: 0
; COMPUTE_PGM_RSRC2:TGID_X_EN: 1
; COMPUTE_PGM_RSRC2:TGID_Y_EN: 1
; COMPUTE_PGM_RSRC2:TGID_Z_EN: 1
; COMPUTE_PGM_RSRC2:TIDIG_COMP_CNT: 0
	.section	.text._ZN2at6native12_GLOBAL__N_132replication_pad_forward_kernel1dIdEEvN5torch10headeronly6detail27GenericPackedTensorAccessorINS5_14TensorAccessorIN3c108ArrayRefIlEEKT_Lm2ENS4_16DefaultPtrTraitsElEENS_6detail16IndexBoundsCheckILm3ElEESC_Lm3ESD_lEENS6_INS7_ISA_SB_Lm2ESD_lEESH_SB_Lm3ESD_lEEiii,"axG",@progbits,_ZN2at6native12_GLOBAL__N_132replication_pad_forward_kernel1dIdEEvN5torch10headeronly6detail27GenericPackedTensorAccessorINS5_14TensorAccessorIN3c108ArrayRefIlEEKT_Lm2ENS4_16DefaultPtrTraitsElEENS_6detail16IndexBoundsCheckILm3ElEESC_Lm3ESD_lEENS6_INS7_ISA_SB_Lm2ESD_lEESH_SB_Lm3ESD_lEEiii,comdat
	.globl	_ZN2at6native12_GLOBAL__N_132replication_pad_forward_kernel1dIdEEvN5torch10headeronly6detail27GenericPackedTensorAccessorINS5_14TensorAccessorIN3c108ArrayRefIlEEKT_Lm2ENS4_16DefaultPtrTraitsElEENS_6detail16IndexBoundsCheckILm3ElEESC_Lm3ESD_lEENS6_INS7_ISA_SB_Lm2ESD_lEESH_SB_Lm3ESD_lEEiii ; -- Begin function _ZN2at6native12_GLOBAL__N_132replication_pad_forward_kernel1dIdEEvN5torch10headeronly6detail27GenericPackedTensorAccessorINS5_14TensorAccessorIN3c108ArrayRefIlEEKT_Lm2ENS4_16DefaultPtrTraitsElEENS_6detail16IndexBoundsCheckILm3ElEESC_Lm3ESD_lEENS6_INS7_ISA_SB_Lm2ESD_lEESH_SB_Lm3ESD_lEEiii
	.p2align	8
	.type	_ZN2at6native12_GLOBAL__N_132replication_pad_forward_kernel1dIdEEvN5torch10headeronly6detail27GenericPackedTensorAccessorINS5_14TensorAccessorIN3c108ArrayRefIlEEKT_Lm2ENS4_16DefaultPtrTraitsElEENS_6detail16IndexBoundsCheckILm3ElEESC_Lm3ESD_lEENS6_INS7_ISA_SB_Lm2ESD_lEESH_SB_Lm3ESD_lEEiii,@function
_ZN2at6native12_GLOBAL__N_132replication_pad_forward_kernel1dIdEEvN5torch10headeronly6detail27GenericPackedTensorAccessorINS5_14TensorAccessorIN3c108ArrayRefIlEEKT_Lm2ENS4_16DefaultPtrTraitsElEENS_6detail16IndexBoundsCheckILm3ElEESC_Lm3ESD_lEENS6_INS7_ISA_SB_Lm2ESD_lEESH_SB_Lm3ESD_lEEiii: ; @_ZN2at6native12_GLOBAL__N_132replication_pad_forward_kernel1dIdEEvN5torch10headeronly6detail27GenericPackedTensorAccessorINS5_14TensorAccessorIN3c108ArrayRefIlEEKT_Lm2ENS4_16DefaultPtrTraitsElEENS_6detail16IndexBoundsCheckILm3ElEESC_Lm3ESD_lEENS6_INS7_ISA_SB_Lm2ESD_lEESH_SB_Lm3ESD_lEEiii
; %bb.0:
	s_clause 0x1
	s_load_b32 s2, s[0:1], 0x8c
	s_load_b64 s[4:5], s[0:1], 0x50
	v_mov_b32_e32 v4, 0
	s_delay_alu instid0(VALU_DEP_1)
	v_mov_b32_e32 v1, v4
	s_waitcnt lgkmcnt(0)
	s_and_b32 s2, s2, 0xffff
	s_delay_alu instid0(VALU_DEP_1) | instid1(SALU_CYCLE_1)
	v_mad_u64_u32 v[2:3], null, s2, s13, v[0:1]
	s_mov_b32 s2, exec_lo
	s_delay_alu instid0(VALU_DEP_1)
	v_cmpx_gt_i64_e64 s[4:5], v[2:3]
	s_cbranch_execz .LBB17_6
; %bb.1:
	v_or_b32_e32 v5, s5, v3
                                        ; implicit-def: $vgpr0_vgpr1
	s_mov_b32 s2, exec_lo
	s_delay_alu instid0(VALU_DEP_1)
	v_cmpx_ne_u64_e32 0, v[4:5]
	s_xor_b32 s3, exec_lo, s2
	s_cbranch_execz .LBB17_3
; %bb.2:
	v_cvt_f32_u32_e32 v0, s4
	v_cvt_f32_u32_e32 v1, s5
	s_sub_u32 s2, 0, s4
	s_subb_u32 s6, 0, s5
	s_delay_alu instid0(VALU_DEP_1) | instskip(NEXT) | instid1(VALU_DEP_1)
	v_fmamk_f32 v0, v1, 0x4f800000, v0
	v_rcp_f32_e32 v0, v0
	s_waitcnt_depctr 0xfff
	v_mul_f32_e32 v0, 0x5f7ffffc, v0
	s_delay_alu instid0(VALU_DEP_1) | instskip(NEXT) | instid1(VALU_DEP_1)
	v_mul_f32_e32 v1, 0x2f800000, v0
	v_trunc_f32_e32 v1, v1
	s_delay_alu instid0(VALU_DEP_1) | instskip(SKIP_1) | instid1(VALU_DEP_2)
	v_fmamk_f32 v0, v1, 0xcf800000, v0
	v_cvt_u32_f32_e32 v1, v1
	v_cvt_u32_f32_e32 v0, v0
	s_delay_alu instid0(VALU_DEP_2) | instskip(NEXT) | instid1(VALU_DEP_2)
	v_mul_lo_u32 v4, s2, v1
	v_mul_hi_u32 v5, s2, v0
	v_mul_lo_u32 v6, s6, v0
	s_delay_alu instid0(VALU_DEP_2) | instskip(SKIP_1) | instid1(VALU_DEP_2)
	v_add_nc_u32_e32 v4, v5, v4
	v_mul_lo_u32 v5, s2, v0
	v_add_nc_u32_e32 v4, v4, v6
	s_delay_alu instid0(VALU_DEP_2) | instskip(NEXT) | instid1(VALU_DEP_2)
	v_mul_hi_u32 v6, v0, v5
	v_mul_lo_u32 v7, v0, v4
	v_mul_hi_u32 v8, v0, v4
	v_mul_hi_u32 v9, v1, v5
	v_mul_lo_u32 v5, v1, v5
	v_mul_hi_u32 v10, v1, v4
	v_mul_lo_u32 v4, v1, v4
	v_add_co_u32 v6, vcc_lo, v6, v7
	v_add_co_ci_u32_e32 v7, vcc_lo, 0, v8, vcc_lo
	s_delay_alu instid0(VALU_DEP_2) | instskip(NEXT) | instid1(VALU_DEP_2)
	v_add_co_u32 v5, vcc_lo, v6, v5
	v_add_co_ci_u32_e32 v5, vcc_lo, v7, v9, vcc_lo
	v_add_co_ci_u32_e32 v6, vcc_lo, 0, v10, vcc_lo
	s_delay_alu instid0(VALU_DEP_2) | instskip(NEXT) | instid1(VALU_DEP_2)
	v_add_co_u32 v4, vcc_lo, v5, v4
	v_add_co_ci_u32_e32 v5, vcc_lo, 0, v6, vcc_lo
	s_delay_alu instid0(VALU_DEP_2) | instskip(NEXT) | instid1(VALU_DEP_2)
	v_add_co_u32 v0, vcc_lo, v0, v4
	v_add_co_ci_u32_e32 v1, vcc_lo, v1, v5, vcc_lo
	s_delay_alu instid0(VALU_DEP_2) | instskip(SKIP_1) | instid1(VALU_DEP_3)
	v_mul_hi_u32 v4, s2, v0
	v_mul_lo_u32 v6, s6, v0
	v_mul_lo_u32 v5, s2, v1
	s_delay_alu instid0(VALU_DEP_1) | instskip(SKIP_1) | instid1(VALU_DEP_2)
	v_add_nc_u32_e32 v4, v4, v5
	v_mul_lo_u32 v5, s2, v0
	v_add_nc_u32_e32 v4, v4, v6
	s_delay_alu instid0(VALU_DEP_2) | instskip(NEXT) | instid1(VALU_DEP_2)
	v_mul_hi_u32 v6, v0, v5
	v_mul_lo_u32 v7, v0, v4
	v_mul_hi_u32 v8, v0, v4
	v_mul_hi_u32 v9, v1, v5
	v_mul_lo_u32 v5, v1, v5
	v_mul_hi_u32 v10, v1, v4
	v_mul_lo_u32 v4, v1, v4
	v_add_co_u32 v6, vcc_lo, v6, v7
	v_add_co_ci_u32_e32 v7, vcc_lo, 0, v8, vcc_lo
	s_delay_alu instid0(VALU_DEP_2) | instskip(NEXT) | instid1(VALU_DEP_2)
	v_add_co_u32 v5, vcc_lo, v6, v5
	v_add_co_ci_u32_e32 v5, vcc_lo, v7, v9, vcc_lo
	v_add_co_ci_u32_e32 v6, vcc_lo, 0, v10, vcc_lo
	s_delay_alu instid0(VALU_DEP_2) | instskip(NEXT) | instid1(VALU_DEP_2)
	v_add_co_u32 v4, vcc_lo, v5, v4
	v_add_co_ci_u32_e32 v5, vcc_lo, 0, v6, vcc_lo
	s_delay_alu instid0(VALU_DEP_2) | instskip(NEXT) | instid1(VALU_DEP_2)
	v_add_co_u32 v6, vcc_lo, v0, v4
	v_add_co_ci_u32_e32 v8, vcc_lo, v1, v5, vcc_lo
	s_delay_alu instid0(VALU_DEP_2) | instskip(SKIP_1) | instid1(VALU_DEP_3)
	v_mul_hi_u32 v9, v2, v6
	v_mad_u64_u32 v[4:5], null, v3, v6, 0
	v_mad_u64_u32 v[0:1], null, v2, v8, 0
	v_mad_u64_u32 v[6:7], null, v3, v8, 0
	s_delay_alu instid0(VALU_DEP_2) | instskip(NEXT) | instid1(VALU_DEP_3)
	v_add_co_u32 v0, vcc_lo, v9, v0
	v_add_co_ci_u32_e32 v1, vcc_lo, 0, v1, vcc_lo
	s_delay_alu instid0(VALU_DEP_2) | instskip(NEXT) | instid1(VALU_DEP_2)
	v_add_co_u32 v0, vcc_lo, v0, v4
	v_add_co_ci_u32_e32 v0, vcc_lo, v1, v5, vcc_lo
	v_add_co_ci_u32_e32 v1, vcc_lo, 0, v7, vcc_lo
	s_delay_alu instid0(VALU_DEP_2) | instskip(NEXT) | instid1(VALU_DEP_2)
	v_add_co_u32 v4, vcc_lo, v0, v6
	v_add_co_ci_u32_e32 v5, vcc_lo, 0, v1, vcc_lo
	s_delay_alu instid0(VALU_DEP_2) | instskip(SKIP_1) | instid1(VALU_DEP_3)
	v_mul_lo_u32 v6, s5, v4
	v_mad_u64_u32 v[0:1], null, s4, v4, 0
	v_mul_lo_u32 v4, s4, v5
	s_delay_alu instid0(VALU_DEP_2) | instskip(NEXT) | instid1(VALU_DEP_2)
	v_sub_co_u32 v0, vcc_lo, v2, v0
	v_add3_u32 v1, v1, v4, v6
	s_delay_alu instid0(VALU_DEP_1) | instskip(NEXT) | instid1(VALU_DEP_1)
	v_sub_nc_u32_e32 v4, v3, v1
	v_subrev_co_ci_u32_e64 v2, s2, s5, v4, vcc_lo
	v_sub_co_ci_u32_e32 v1, vcc_lo, v3, v1, vcc_lo
	v_sub_co_u32 v3, vcc_lo, v0, s4
	s_delay_alu instid0(VALU_DEP_1) | instskip(SKIP_3) | instid1(VALU_DEP_3)
	v_subrev_co_ci_u32_e64 v4, s2, 0, v2, vcc_lo
	v_cmp_le_u32_e64 s2, s4, v0
	v_subrev_co_ci_u32_e32 v2, vcc_lo, s5, v2, vcc_lo
	v_cmp_le_u32_e32 vcc_lo, s5, v1
	v_cndmask_b32_e64 v5, 0, -1, s2
	v_cmp_le_u32_e64 s2, s4, v3
	v_cndmask_b32_e64 v8, 0, -1, vcc_lo
	v_cmp_eq_u32_e32 vcc_lo, s5, v4
	s_delay_alu instid0(VALU_DEP_3) | instskip(SKIP_1) | instid1(VALU_DEP_1)
	v_cndmask_b32_e64 v6, 0, -1, s2
	v_cmp_le_u32_e64 s2, s5, v4
	v_cndmask_b32_e64 v7, 0, -1, s2
	v_cmp_eq_u32_e64 s2, s5, v1
	s_delay_alu instid0(VALU_DEP_2) | instskip(SKIP_2) | instid1(VALU_DEP_3)
	v_cndmask_b32_e32 v6, v7, v6, vcc_lo
	v_sub_co_u32 v7, vcc_lo, v3, s4
	v_subrev_co_ci_u32_e32 v2, vcc_lo, 0, v2, vcc_lo
	v_cmp_ne_u32_e32 vcc_lo, 0, v6
	v_cndmask_b32_e64 v5, v8, v5, s2
	s_delay_alu instid0(VALU_DEP_3) | instskip(NEXT) | instid1(VALU_DEP_2)
	v_dual_cndmask_b32 v2, v4, v2 :: v_dual_cndmask_b32 v3, v3, v7
	v_cmp_ne_u32_e32 vcc_lo, 0, v5
	s_delay_alu instid0(VALU_DEP_2)
	v_dual_cndmask_b32 v1, v1, v2 :: v_dual_cndmask_b32 v0, v0, v3
                                        ; implicit-def: $vgpr2_vgpr3
.LBB17_3:
	s_and_not1_saveexec_b32 s2, s3
	s_cbranch_execz .LBB17_5
; %bb.4:
	v_cvt_f32_u32_e32 v0, s4
	s_sub_i32 s3, 0, s4
	s_delay_alu instid0(VALU_DEP_1) | instskip(SKIP_2) | instid1(VALU_DEP_1)
	v_rcp_iflag_f32_e32 v0, v0
	s_waitcnt_depctr 0xfff
	v_mul_f32_e32 v0, 0x4f7ffffe, v0
	v_cvt_u32_f32_e32 v0, v0
	s_delay_alu instid0(VALU_DEP_1) | instskip(NEXT) | instid1(VALU_DEP_1)
	v_mul_lo_u32 v1, s3, v0
	v_mul_hi_u32 v1, v0, v1
	s_delay_alu instid0(VALU_DEP_1) | instskip(NEXT) | instid1(VALU_DEP_1)
	v_add_nc_u32_e32 v0, v0, v1
	v_mul_hi_u32 v0, v2, v0
	s_delay_alu instid0(VALU_DEP_1) | instskip(NEXT) | instid1(VALU_DEP_1)
	v_mul_lo_u32 v0, v0, s4
	v_sub_nc_u32_e32 v0, v2, v0
	s_delay_alu instid0(VALU_DEP_1) | instskip(SKIP_1) | instid1(VALU_DEP_2)
	v_subrev_nc_u32_e32 v1, s4, v0
	v_cmp_le_u32_e32 vcc_lo, s4, v0
	v_cndmask_b32_e32 v0, v0, v1, vcc_lo
	s_delay_alu instid0(VALU_DEP_1) | instskip(SKIP_1) | instid1(VALU_DEP_2)
	v_subrev_nc_u32_e32 v1, s4, v0
	v_cmp_le_u32_e32 vcc_lo, s4, v0
	v_dual_cndmask_b32 v0, v0, v1 :: v_dual_mov_b32 v1, 0
.LBB17_5:
	s_or_b32 exec_lo, exec_lo, s2
	s_clause 0x2
	s_load_b256 s[4:11], s[0:1], 0x18
	s_load_b128 s[16:19], s[0:1], 0x70
	s_load_b64 s[2:3], s[0:1], 0x68
	s_waitcnt lgkmcnt(0)
	s_add_i32 s4, s16, s4
	s_sub_i32 s5, 0, s16
	s_add_i32 s4, s4, -1
	s_max_i32 s12, s16, 0
	v_maxmin_i32 v2, s16, v0, s4
	s_max_i32 s4, s5, 0
	s_add_i32 s15, s15, s18
	s_sub_i32 s4, s4, s12
	s_mul_i32 s7, s7, s15
	v_add_nc_u32_e32 v4, s4, v2
	s_load_b64 s[4:5], s[0:1], 0x0
	s_add_i32 s14, s14, s17
	v_mul_lo_u32 v1, s2, v1
	s_mul_i32 s9, s9, s14
	v_ashrrev_i32_e32 v5, 31, v4
	v_mul_lo_u32 v6, s11, v4
	v_mad_u64_u32 v[2:3], null, s10, v4, 0
	s_delay_alu instid0(VALU_DEP_3)
	v_mul_lo_u32 v4, s10, v5
	s_mul_hi_u32 s10, s6, s15
	s_mul_i32 s6, s6, s15
	s_add_i32 s7, s10, s7
	s_mul_hi_u32 s10, s8, s14
	s_lshl_b64 s[6:7], s[6:7], 3
	s_mul_i32 s8, s8, s14
	s_delay_alu instid0(VALU_DEP_1)
	v_add3_u32 v3, v3, v4, v6
	v_mul_lo_u32 v6, s3, v0
	v_mad_u64_u32 v[4:5], null, s2, v0, 0
	s_waitcnt lgkmcnt(0)
	s_add_u32 s6, s4, s6
	s_addc_u32 s7, s5, s7
	s_add_i32 s9, s10, s9
	v_lshlrev_b64 v[2:3], 3, v[2:3]
	s_lshl_b64 s[4:5], s[8:9], 3
	s_delay_alu instid0(SALU_CYCLE_1) | instskip(SKIP_2) | instid1(VALU_DEP_2)
	s_add_u32 s4, s6, s4
	s_addc_u32 s5, s7, s5
	v_add3_u32 v5, v5, v1, v6
	v_add_co_u32 v2, vcc_lo, s4, v2
	v_add_co_ci_u32_e32 v3, vcc_lo, s5, v3, vcc_lo
	s_delay_alu instid0(VALU_DEP_3)
	v_lshlrev_b64 v[0:1], 3, v[4:5]
	global_load_b64 v[2:3], v[2:3], off
	s_clause 0x1
	s_load_b128 s[4:7], s[0:1], 0x58
	s_load_b64 s[0:1], s[0:1], 0x38
	s_waitcnt lgkmcnt(0)
	s_mul_i32 s5, s5, s15
	s_mul_hi_u32 s8, s4, s15
	s_mul_i32 s2, s4, s15
	s_add_i32 s3, s8, s5
	s_mul_hi_u32 s4, s6, s14
	s_lshl_b64 s[2:3], s[2:3], 3
	s_delay_alu instid0(SALU_CYCLE_1) | instskip(SKIP_4) | instid1(SALU_CYCLE_1)
	s_add_u32 s2, s0, s2
	s_mul_i32 s0, s7, s14
	s_addc_u32 s3, s1, s3
	s_add_i32 s1, s4, s0
	s_mul_i32 s0, s6, s14
	s_lshl_b64 s[0:1], s[0:1], 3
	s_delay_alu instid0(SALU_CYCLE_1)
	s_add_u32 s0, s2, s0
	s_addc_u32 s1, s3, s1
	v_add_co_u32 v0, vcc_lo, s0, v0
	v_add_co_ci_u32_e32 v1, vcc_lo, s1, v1, vcc_lo
	s_waitcnt vmcnt(0)
	global_store_b64 v[0:1], v[2:3], off
.LBB17_6:
	s_nop 0
	s_sendmsg sendmsg(MSG_DEALLOC_VGPRS)
	s_endpgm
	.section	.rodata,"a",@progbits
	.p2align	6, 0x0
	.amdhsa_kernel _ZN2at6native12_GLOBAL__N_132replication_pad_forward_kernel1dIdEEvN5torch10headeronly6detail27GenericPackedTensorAccessorINS5_14TensorAccessorIN3c108ArrayRefIlEEKT_Lm2ENS4_16DefaultPtrTraitsElEENS_6detail16IndexBoundsCheckILm3ElEESC_Lm3ESD_lEENS6_INS7_ISA_SB_Lm2ESD_lEESH_SB_Lm3ESD_lEEiii
		.amdhsa_group_segment_fixed_size 0
		.amdhsa_private_segment_fixed_size 0
		.amdhsa_kernarg_size 384
		.amdhsa_user_sgpr_count 13
		.amdhsa_user_sgpr_dispatch_ptr 0
		.amdhsa_user_sgpr_queue_ptr 0
		.amdhsa_user_sgpr_kernarg_segment_ptr 1
		.amdhsa_user_sgpr_dispatch_id 0
		.amdhsa_user_sgpr_private_segment_size 0
		.amdhsa_wavefront_size32 1
		.amdhsa_uses_dynamic_stack 0
		.amdhsa_enable_private_segment 0
		.amdhsa_system_sgpr_workgroup_id_x 1
		.amdhsa_system_sgpr_workgroup_id_y 1
		.amdhsa_system_sgpr_workgroup_id_z 1
		.amdhsa_system_sgpr_workgroup_info 0
		.amdhsa_system_vgpr_workitem_id 0
		.amdhsa_next_free_vgpr 11
		.amdhsa_next_free_sgpr 20
		.amdhsa_reserve_vcc 1
		.amdhsa_float_round_mode_32 0
		.amdhsa_float_round_mode_16_64 0
		.amdhsa_float_denorm_mode_32 3
		.amdhsa_float_denorm_mode_16_64 3
		.amdhsa_dx10_clamp 1
		.amdhsa_ieee_mode 1
		.amdhsa_fp16_overflow 0
		.amdhsa_workgroup_processor_mode 1
		.amdhsa_memory_ordered 1
		.amdhsa_forward_progress 0
		.amdhsa_shared_vgpr_count 0
		.amdhsa_exception_fp_ieee_invalid_op 0
		.amdhsa_exception_fp_denorm_src 0
		.amdhsa_exception_fp_ieee_div_zero 0
		.amdhsa_exception_fp_ieee_overflow 0
		.amdhsa_exception_fp_ieee_underflow 0
		.amdhsa_exception_fp_ieee_inexact 0
		.amdhsa_exception_int_div_zero 0
	.end_amdhsa_kernel
	.section	.text._ZN2at6native12_GLOBAL__N_132replication_pad_forward_kernel1dIdEEvN5torch10headeronly6detail27GenericPackedTensorAccessorINS5_14TensorAccessorIN3c108ArrayRefIlEEKT_Lm2ENS4_16DefaultPtrTraitsElEENS_6detail16IndexBoundsCheckILm3ElEESC_Lm3ESD_lEENS6_INS7_ISA_SB_Lm2ESD_lEESH_SB_Lm3ESD_lEEiii,"axG",@progbits,_ZN2at6native12_GLOBAL__N_132replication_pad_forward_kernel1dIdEEvN5torch10headeronly6detail27GenericPackedTensorAccessorINS5_14TensorAccessorIN3c108ArrayRefIlEEKT_Lm2ENS4_16DefaultPtrTraitsElEENS_6detail16IndexBoundsCheckILm3ElEESC_Lm3ESD_lEENS6_INS7_ISA_SB_Lm2ESD_lEESH_SB_Lm3ESD_lEEiii,comdat
.Lfunc_end17:
	.size	_ZN2at6native12_GLOBAL__N_132replication_pad_forward_kernel1dIdEEvN5torch10headeronly6detail27GenericPackedTensorAccessorINS5_14TensorAccessorIN3c108ArrayRefIlEEKT_Lm2ENS4_16DefaultPtrTraitsElEENS_6detail16IndexBoundsCheckILm3ElEESC_Lm3ESD_lEENS6_INS7_ISA_SB_Lm2ESD_lEESH_SB_Lm3ESD_lEEiii, .Lfunc_end17-_ZN2at6native12_GLOBAL__N_132replication_pad_forward_kernel1dIdEEvN5torch10headeronly6detail27GenericPackedTensorAccessorINS5_14TensorAccessorIN3c108ArrayRefIlEEKT_Lm2ENS4_16DefaultPtrTraitsElEENS_6detail16IndexBoundsCheckILm3ElEESC_Lm3ESD_lEENS6_INS7_ISA_SB_Lm2ESD_lEESH_SB_Lm3ESD_lEEiii
                                        ; -- End function
	.section	.AMDGPU.csdata,"",@progbits
; Kernel info:
; codeLenInByte = 1360
; NumSgprs: 22
; NumVgprs: 11
; ScratchSize: 0
; MemoryBound: 0
; FloatMode: 240
; IeeeMode: 1
; LDSByteSize: 0 bytes/workgroup (compile time only)
; SGPRBlocks: 2
; VGPRBlocks: 1
; NumSGPRsForWavesPerEU: 22
; NumVGPRsForWavesPerEU: 11
; Occupancy: 16
; WaveLimiterHint : 1
; COMPUTE_PGM_RSRC2:SCRATCH_EN: 0
; COMPUTE_PGM_RSRC2:USER_SGPR: 13
; COMPUTE_PGM_RSRC2:TRAP_HANDLER: 0
; COMPUTE_PGM_RSRC2:TGID_X_EN: 1
; COMPUTE_PGM_RSRC2:TGID_Y_EN: 1
; COMPUTE_PGM_RSRC2:TGID_Z_EN: 1
; COMPUTE_PGM_RSRC2:TIDIG_COMP_CNT: 0
	.section	.text._ZN2at6native12_GLOBAL__N_132replication_pad_forward_kernel1dIfEEvN5torch10headeronly6detail27GenericPackedTensorAccessorINS5_14TensorAccessorIN3c108ArrayRefIlEEKT_Lm2ENS4_16DefaultPtrTraitsElEENS_6detail16IndexBoundsCheckILm3ElEESC_Lm3ESD_lEENS6_INS7_ISA_SB_Lm2ESD_lEESH_SB_Lm3ESD_lEEiii,"axG",@progbits,_ZN2at6native12_GLOBAL__N_132replication_pad_forward_kernel1dIfEEvN5torch10headeronly6detail27GenericPackedTensorAccessorINS5_14TensorAccessorIN3c108ArrayRefIlEEKT_Lm2ENS4_16DefaultPtrTraitsElEENS_6detail16IndexBoundsCheckILm3ElEESC_Lm3ESD_lEENS6_INS7_ISA_SB_Lm2ESD_lEESH_SB_Lm3ESD_lEEiii,comdat
	.globl	_ZN2at6native12_GLOBAL__N_132replication_pad_forward_kernel1dIfEEvN5torch10headeronly6detail27GenericPackedTensorAccessorINS5_14TensorAccessorIN3c108ArrayRefIlEEKT_Lm2ENS4_16DefaultPtrTraitsElEENS_6detail16IndexBoundsCheckILm3ElEESC_Lm3ESD_lEENS6_INS7_ISA_SB_Lm2ESD_lEESH_SB_Lm3ESD_lEEiii ; -- Begin function _ZN2at6native12_GLOBAL__N_132replication_pad_forward_kernel1dIfEEvN5torch10headeronly6detail27GenericPackedTensorAccessorINS5_14TensorAccessorIN3c108ArrayRefIlEEKT_Lm2ENS4_16DefaultPtrTraitsElEENS_6detail16IndexBoundsCheckILm3ElEESC_Lm3ESD_lEENS6_INS7_ISA_SB_Lm2ESD_lEESH_SB_Lm3ESD_lEEiii
	.p2align	8
	.type	_ZN2at6native12_GLOBAL__N_132replication_pad_forward_kernel1dIfEEvN5torch10headeronly6detail27GenericPackedTensorAccessorINS5_14TensorAccessorIN3c108ArrayRefIlEEKT_Lm2ENS4_16DefaultPtrTraitsElEENS_6detail16IndexBoundsCheckILm3ElEESC_Lm3ESD_lEENS6_INS7_ISA_SB_Lm2ESD_lEESH_SB_Lm3ESD_lEEiii,@function
_ZN2at6native12_GLOBAL__N_132replication_pad_forward_kernel1dIfEEvN5torch10headeronly6detail27GenericPackedTensorAccessorINS5_14TensorAccessorIN3c108ArrayRefIlEEKT_Lm2ENS4_16DefaultPtrTraitsElEENS_6detail16IndexBoundsCheckILm3ElEESC_Lm3ESD_lEENS6_INS7_ISA_SB_Lm2ESD_lEESH_SB_Lm3ESD_lEEiii: ; @_ZN2at6native12_GLOBAL__N_132replication_pad_forward_kernel1dIfEEvN5torch10headeronly6detail27GenericPackedTensorAccessorINS5_14TensorAccessorIN3c108ArrayRefIlEEKT_Lm2ENS4_16DefaultPtrTraitsElEENS_6detail16IndexBoundsCheckILm3ElEESC_Lm3ESD_lEENS6_INS7_ISA_SB_Lm2ESD_lEESH_SB_Lm3ESD_lEEiii
; %bb.0:
	s_clause 0x1
	s_load_b32 s2, s[0:1], 0x8c
	s_load_b64 s[4:5], s[0:1], 0x50
	v_mov_b32_e32 v4, 0
	s_delay_alu instid0(VALU_DEP_1)
	v_mov_b32_e32 v1, v4
	s_waitcnt lgkmcnt(0)
	s_and_b32 s2, s2, 0xffff
	s_delay_alu instid0(VALU_DEP_1) | instid1(SALU_CYCLE_1)
	v_mad_u64_u32 v[2:3], null, s2, s13, v[0:1]
	s_mov_b32 s2, exec_lo
	s_delay_alu instid0(VALU_DEP_1)
	v_cmpx_gt_i64_e64 s[4:5], v[2:3]
	s_cbranch_execz .LBB18_6
; %bb.1:
	v_or_b32_e32 v5, s5, v3
                                        ; implicit-def: $vgpr0_vgpr1
	s_mov_b32 s2, exec_lo
	s_delay_alu instid0(VALU_DEP_1)
	v_cmpx_ne_u64_e32 0, v[4:5]
	s_xor_b32 s3, exec_lo, s2
	s_cbranch_execz .LBB18_3
; %bb.2:
	v_cvt_f32_u32_e32 v0, s4
	v_cvt_f32_u32_e32 v1, s5
	s_sub_u32 s2, 0, s4
	s_subb_u32 s6, 0, s5
	s_delay_alu instid0(VALU_DEP_1) | instskip(NEXT) | instid1(VALU_DEP_1)
	v_fmamk_f32 v0, v1, 0x4f800000, v0
	v_rcp_f32_e32 v0, v0
	s_waitcnt_depctr 0xfff
	v_mul_f32_e32 v0, 0x5f7ffffc, v0
	s_delay_alu instid0(VALU_DEP_1) | instskip(NEXT) | instid1(VALU_DEP_1)
	v_mul_f32_e32 v1, 0x2f800000, v0
	v_trunc_f32_e32 v1, v1
	s_delay_alu instid0(VALU_DEP_1) | instskip(SKIP_1) | instid1(VALU_DEP_2)
	v_fmamk_f32 v0, v1, 0xcf800000, v0
	v_cvt_u32_f32_e32 v1, v1
	v_cvt_u32_f32_e32 v0, v0
	s_delay_alu instid0(VALU_DEP_2) | instskip(NEXT) | instid1(VALU_DEP_2)
	v_mul_lo_u32 v4, s2, v1
	v_mul_hi_u32 v5, s2, v0
	v_mul_lo_u32 v6, s6, v0
	s_delay_alu instid0(VALU_DEP_2) | instskip(SKIP_1) | instid1(VALU_DEP_2)
	v_add_nc_u32_e32 v4, v5, v4
	v_mul_lo_u32 v5, s2, v0
	v_add_nc_u32_e32 v4, v4, v6
	s_delay_alu instid0(VALU_DEP_2) | instskip(NEXT) | instid1(VALU_DEP_2)
	v_mul_hi_u32 v6, v0, v5
	v_mul_lo_u32 v7, v0, v4
	v_mul_hi_u32 v8, v0, v4
	v_mul_hi_u32 v9, v1, v5
	v_mul_lo_u32 v5, v1, v5
	v_mul_hi_u32 v10, v1, v4
	v_mul_lo_u32 v4, v1, v4
	v_add_co_u32 v6, vcc_lo, v6, v7
	v_add_co_ci_u32_e32 v7, vcc_lo, 0, v8, vcc_lo
	s_delay_alu instid0(VALU_DEP_2) | instskip(NEXT) | instid1(VALU_DEP_2)
	v_add_co_u32 v5, vcc_lo, v6, v5
	v_add_co_ci_u32_e32 v5, vcc_lo, v7, v9, vcc_lo
	v_add_co_ci_u32_e32 v6, vcc_lo, 0, v10, vcc_lo
	s_delay_alu instid0(VALU_DEP_2) | instskip(NEXT) | instid1(VALU_DEP_2)
	v_add_co_u32 v4, vcc_lo, v5, v4
	v_add_co_ci_u32_e32 v5, vcc_lo, 0, v6, vcc_lo
	s_delay_alu instid0(VALU_DEP_2) | instskip(NEXT) | instid1(VALU_DEP_2)
	v_add_co_u32 v0, vcc_lo, v0, v4
	v_add_co_ci_u32_e32 v1, vcc_lo, v1, v5, vcc_lo
	s_delay_alu instid0(VALU_DEP_2) | instskip(SKIP_1) | instid1(VALU_DEP_3)
	v_mul_hi_u32 v4, s2, v0
	v_mul_lo_u32 v6, s6, v0
	v_mul_lo_u32 v5, s2, v1
	s_delay_alu instid0(VALU_DEP_1) | instskip(SKIP_1) | instid1(VALU_DEP_2)
	v_add_nc_u32_e32 v4, v4, v5
	v_mul_lo_u32 v5, s2, v0
	v_add_nc_u32_e32 v4, v4, v6
	s_delay_alu instid0(VALU_DEP_2) | instskip(NEXT) | instid1(VALU_DEP_2)
	v_mul_hi_u32 v6, v0, v5
	v_mul_lo_u32 v7, v0, v4
	v_mul_hi_u32 v8, v0, v4
	v_mul_hi_u32 v9, v1, v5
	v_mul_lo_u32 v5, v1, v5
	v_mul_hi_u32 v10, v1, v4
	v_mul_lo_u32 v4, v1, v4
	v_add_co_u32 v6, vcc_lo, v6, v7
	v_add_co_ci_u32_e32 v7, vcc_lo, 0, v8, vcc_lo
	s_delay_alu instid0(VALU_DEP_2) | instskip(NEXT) | instid1(VALU_DEP_2)
	v_add_co_u32 v5, vcc_lo, v6, v5
	v_add_co_ci_u32_e32 v5, vcc_lo, v7, v9, vcc_lo
	v_add_co_ci_u32_e32 v6, vcc_lo, 0, v10, vcc_lo
	s_delay_alu instid0(VALU_DEP_2) | instskip(NEXT) | instid1(VALU_DEP_2)
	v_add_co_u32 v4, vcc_lo, v5, v4
	v_add_co_ci_u32_e32 v5, vcc_lo, 0, v6, vcc_lo
	s_delay_alu instid0(VALU_DEP_2) | instskip(NEXT) | instid1(VALU_DEP_2)
	v_add_co_u32 v6, vcc_lo, v0, v4
	v_add_co_ci_u32_e32 v8, vcc_lo, v1, v5, vcc_lo
	s_delay_alu instid0(VALU_DEP_2) | instskip(SKIP_1) | instid1(VALU_DEP_3)
	v_mul_hi_u32 v9, v2, v6
	v_mad_u64_u32 v[4:5], null, v3, v6, 0
	v_mad_u64_u32 v[0:1], null, v2, v8, 0
	;; [unrolled: 1-line block ×3, first 2 shown]
	s_delay_alu instid0(VALU_DEP_2) | instskip(NEXT) | instid1(VALU_DEP_3)
	v_add_co_u32 v0, vcc_lo, v9, v0
	v_add_co_ci_u32_e32 v1, vcc_lo, 0, v1, vcc_lo
	s_delay_alu instid0(VALU_DEP_2) | instskip(NEXT) | instid1(VALU_DEP_2)
	v_add_co_u32 v0, vcc_lo, v0, v4
	v_add_co_ci_u32_e32 v0, vcc_lo, v1, v5, vcc_lo
	v_add_co_ci_u32_e32 v1, vcc_lo, 0, v7, vcc_lo
	s_delay_alu instid0(VALU_DEP_2) | instskip(NEXT) | instid1(VALU_DEP_2)
	v_add_co_u32 v4, vcc_lo, v0, v6
	v_add_co_ci_u32_e32 v5, vcc_lo, 0, v1, vcc_lo
	s_delay_alu instid0(VALU_DEP_2) | instskip(SKIP_1) | instid1(VALU_DEP_3)
	v_mul_lo_u32 v6, s5, v4
	v_mad_u64_u32 v[0:1], null, s4, v4, 0
	v_mul_lo_u32 v4, s4, v5
	s_delay_alu instid0(VALU_DEP_2) | instskip(NEXT) | instid1(VALU_DEP_2)
	v_sub_co_u32 v0, vcc_lo, v2, v0
	v_add3_u32 v1, v1, v4, v6
	s_delay_alu instid0(VALU_DEP_1) | instskip(NEXT) | instid1(VALU_DEP_1)
	v_sub_nc_u32_e32 v4, v3, v1
	v_subrev_co_ci_u32_e64 v2, s2, s5, v4, vcc_lo
	v_sub_co_ci_u32_e32 v1, vcc_lo, v3, v1, vcc_lo
	v_sub_co_u32 v3, vcc_lo, v0, s4
	s_delay_alu instid0(VALU_DEP_1) | instskip(SKIP_3) | instid1(VALU_DEP_3)
	v_subrev_co_ci_u32_e64 v4, s2, 0, v2, vcc_lo
	v_cmp_le_u32_e64 s2, s4, v0
	v_subrev_co_ci_u32_e32 v2, vcc_lo, s5, v2, vcc_lo
	v_cmp_le_u32_e32 vcc_lo, s5, v1
	v_cndmask_b32_e64 v5, 0, -1, s2
	v_cmp_le_u32_e64 s2, s4, v3
	v_cndmask_b32_e64 v8, 0, -1, vcc_lo
	v_cmp_eq_u32_e32 vcc_lo, s5, v4
	s_delay_alu instid0(VALU_DEP_3) | instskip(SKIP_1) | instid1(VALU_DEP_1)
	v_cndmask_b32_e64 v6, 0, -1, s2
	v_cmp_le_u32_e64 s2, s5, v4
	v_cndmask_b32_e64 v7, 0, -1, s2
	v_cmp_eq_u32_e64 s2, s5, v1
	s_delay_alu instid0(VALU_DEP_2) | instskip(SKIP_2) | instid1(VALU_DEP_3)
	v_cndmask_b32_e32 v6, v7, v6, vcc_lo
	v_sub_co_u32 v7, vcc_lo, v3, s4
	v_subrev_co_ci_u32_e32 v2, vcc_lo, 0, v2, vcc_lo
	v_cmp_ne_u32_e32 vcc_lo, 0, v6
	v_cndmask_b32_e64 v5, v8, v5, s2
	s_delay_alu instid0(VALU_DEP_3) | instskip(NEXT) | instid1(VALU_DEP_2)
	v_dual_cndmask_b32 v2, v4, v2 :: v_dual_cndmask_b32 v3, v3, v7
	v_cmp_ne_u32_e32 vcc_lo, 0, v5
	s_delay_alu instid0(VALU_DEP_2)
	v_dual_cndmask_b32 v1, v1, v2 :: v_dual_cndmask_b32 v0, v0, v3
                                        ; implicit-def: $vgpr2_vgpr3
.LBB18_3:
	s_and_not1_saveexec_b32 s2, s3
	s_cbranch_execz .LBB18_5
; %bb.4:
	v_cvt_f32_u32_e32 v0, s4
	s_sub_i32 s3, 0, s4
	s_delay_alu instid0(VALU_DEP_1) | instskip(SKIP_2) | instid1(VALU_DEP_1)
	v_rcp_iflag_f32_e32 v0, v0
	s_waitcnt_depctr 0xfff
	v_mul_f32_e32 v0, 0x4f7ffffe, v0
	v_cvt_u32_f32_e32 v0, v0
	s_delay_alu instid0(VALU_DEP_1) | instskip(NEXT) | instid1(VALU_DEP_1)
	v_mul_lo_u32 v1, s3, v0
	v_mul_hi_u32 v1, v0, v1
	s_delay_alu instid0(VALU_DEP_1) | instskip(NEXT) | instid1(VALU_DEP_1)
	v_add_nc_u32_e32 v0, v0, v1
	v_mul_hi_u32 v0, v2, v0
	s_delay_alu instid0(VALU_DEP_1) | instskip(NEXT) | instid1(VALU_DEP_1)
	v_mul_lo_u32 v0, v0, s4
	v_sub_nc_u32_e32 v0, v2, v0
	s_delay_alu instid0(VALU_DEP_1) | instskip(SKIP_1) | instid1(VALU_DEP_2)
	v_subrev_nc_u32_e32 v1, s4, v0
	v_cmp_le_u32_e32 vcc_lo, s4, v0
	v_cndmask_b32_e32 v0, v0, v1, vcc_lo
	s_delay_alu instid0(VALU_DEP_1) | instskip(SKIP_1) | instid1(VALU_DEP_2)
	v_subrev_nc_u32_e32 v1, s4, v0
	v_cmp_le_u32_e32 vcc_lo, s4, v0
	v_dual_cndmask_b32 v0, v0, v1 :: v_dual_mov_b32 v1, 0
.LBB18_5:
	s_or_b32 exec_lo, exec_lo, s2
	s_clause 0x2
	s_load_b256 s[4:11], s[0:1], 0x18
	s_load_b128 s[16:19], s[0:1], 0x70
	s_load_b64 s[2:3], s[0:1], 0x68
	s_waitcnt lgkmcnt(0)
	s_add_i32 s4, s16, s4
	s_sub_i32 s5, 0, s16
	s_add_i32 s4, s4, -1
	s_max_i32 s12, s16, 0
	v_maxmin_i32 v2, s16, v0, s4
	s_max_i32 s4, s5, 0
	s_add_i32 s15, s15, s18
	s_sub_i32 s4, s4, s12
	s_mul_i32 s7, s7, s15
	v_add_nc_u32_e32 v4, s4, v2
	s_load_b64 s[4:5], s[0:1], 0x0
	s_add_i32 s14, s14, s17
	s_delay_alu instid0(SALU_CYCLE_1) | instskip(NEXT) | instid1(VALU_DEP_1)
	s_mul_i32 s9, s9, s14
	v_ashrrev_i32_e32 v5, 31, v4
	v_mul_lo_u32 v6, s11, v4
	v_mad_u64_u32 v[2:3], null, s10, v4, 0
	s_delay_alu instid0(VALU_DEP_3)
	v_mul_lo_u32 v4, s10, v5
	s_mul_hi_u32 s10, s6, s15
	s_mul_i32 s6, s6, s15
	s_add_i32 s7, s10, s7
	s_mul_hi_u32 s10, s8, s14
	s_lshl_b64 s[6:7], s[6:7], 2
	s_mul_i32 s8, s8, s14
	v_mul_lo_u32 v5, s2, v1
	v_add3_u32 v3, v3, v4, v6
	v_mul_lo_u32 v4, s3, v0
	s_waitcnt lgkmcnt(0)
	s_add_u32 s6, s4, s6
	s_addc_u32 s7, s5, s7
	s_add_i32 s9, s10, s9
	v_lshlrev_b64 v[2:3], 2, v[2:3]
	s_lshl_b64 s[4:5], s[8:9], 2
	s_delay_alu instid0(SALU_CYCLE_1) | instskip(SKIP_1) | instid1(VALU_DEP_1)
	s_add_u32 s4, s6, s4
	s_addc_u32 s5, s7, s5
	v_add_co_u32 v2, vcc_lo, s4, v2
	s_delay_alu instid0(VALU_DEP_2)
	v_add_co_ci_u32_e32 v3, vcc_lo, s5, v3, vcc_lo
	global_load_b32 v3, v[2:3], off
	s_clause 0x1
	s_load_b128 s[4:7], s[0:1], 0x58
	s_load_b64 s[0:1], s[0:1], 0x38
	v_mad_u64_u32 v[1:2], null, s2, v0, 0
	s_delay_alu instid0(VALU_DEP_1) | instskip(NEXT) | instid1(VALU_DEP_1)
	v_add3_u32 v2, v2, v5, v4
	v_lshlrev_b64 v[0:1], 2, v[1:2]
	s_waitcnt lgkmcnt(0)
	s_mul_i32 s5, s5, s15
	s_mul_hi_u32 s8, s4, s15
	s_mul_i32 s2, s4, s15
	s_add_i32 s3, s8, s5
	s_mul_hi_u32 s4, s6, s14
	s_lshl_b64 s[2:3], s[2:3], 2
	s_delay_alu instid0(SALU_CYCLE_1) | instskip(SKIP_4) | instid1(SALU_CYCLE_1)
	s_add_u32 s2, s0, s2
	s_mul_i32 s0, s7, s14
	s_addc_u32 s3, s1, s3
	s_add_i32 s1, s4, s0
	s_mul_i32 s0, s6, s14
	s_lshl_b64 s[0:1], s[0:1], 2
	s_delay_alu instid0(SALU_CYCLE_1)
	s_add_u32 s0, s2, s0
	s_addc_u32 s1, s3, s1
	v_add_co_u32 v0, vcc_lo, s0, v0
	v_add_co_ci_u32_e32 v1, vcc_lo, s1, v1, vcc_lo
	s_waitcnt vmcnt(0)
	global_store_b32 v[0:1], v3, off
.LBB18_6:
	s_nop 0
	s_sendmsg sendmsg(MSG_DEALLOC_VGPRS)
	s_endpgm
	.section	.rodata,"a",@progbits
	.p2align	6, 0x0
	.amdhsa_kernel _ZN2at6native12_GLOBAL__N_132replication_pad_forward_kernel1dIfEEvN5torch10headeronly6detail27GenericPackedTensorAccessorINS5_14TensorAccessorIN3c108ArrayRefIlEEKT_Lm2ENS4_16DefaultPtrTraitsElEENS_6detail16IndexBoundsCheckILm3ElEESC_Lm3ESD_lEENS6_INS7_ISA_SB_Lm2ESD_lEESH_SB_Lm3ESD_lEEiii
		.amdhsa_group_segment_fixed_size 0
		.amdhsa_private_segment_fixed_size 0
		.amdhsa_kernarg_size 384
		.amdhsa_user_sgpr_count 13
		.amdhsa_user_sgpr_dispatch_ptr 0
		.amdhsa_user_sgpr_queue_ptr 0
		.amdhsa_user_sgpr_kernarg_segment_ptr 1
		.amdhsa_user_sgpr_dispatch_id 0
		.amdhsa_user_sgpr_private_segment_size 0
		.amdhsa_wavefront_size32 1
		.amdhsa_uses_dynamic_stack 0
		.amdhsa_enable_private_segment 0
		.amdhsa_system_sgpr_workgroup_id_x 1
		.amdhsa_system_sgpr_workgroup_id_y 1
		.amdhsa_system_sgpr_workgroup_id_z 1
		.amdhsa_system_sgpr_workgroup_info 0
		.amdhsa_system_vgpr_workitem_id 0
		.amdhsa_next_free_vgpr 11
		.amdhsa_next_free_sgpr 20
		.amdhsa_reserve_vcc 1
		.amdhsa_float_round_mode_32 0
		.amdhsa_float_round_mode_16_64 0
		.amdhsa_float_denorm_mode_32 3
		.amdhsa_float_denorm_mode_16_64 3
		.amdhsa_dx10_clamp 1
		.amdhsa_ieee_mode 1
		.amdhsa_fp16_overflow 0
		.amdhsa_workgroup_processor_mode 1
		.amdhsa_memory_ordered 1
		.amdhsa_forward_progress 0
		.amdhsa_shared_vgpr_count 0
		.amdhsa_exception_fp_ieee_invalid_op 0
		.amdhsa_exception_fp_denorm_src 0
		.amdhsa_exception_fp_ieee_div_zero 0
		.amdhsa_exception_fp_ieee_overflow 0
		.amdhsa_exception_fp_ieee_underflow 0
		.amdhsa_exception_fp_ieee_inexact 0
		.amdhsa_exception_int_div_zero 0
	.end_amdhsa_kernel
	.section	.text._ZN2at6native12_GLOBAL__N_132replication_pad_forward_kernel1dIfEEvN5torch10headeronly6detail27GenericPackedTensorAccessorINS5_14TensorAccessorIN3c108ArrayRefIlEEKT_Lm2ENS4_16DefaultPtrTraitsElEENS_6detail16IndexBoundsCheckILm3ElEESC_Lm3ESD_lEENS6_INS7_ISA_SB_Lm2ESD_lEESH_SB_Lm3ESD_lEEiii,"axG",@progbits,_ZN2at6native12_GLOBAL__N_132replication_pad_forward_kernel1dIfEEvN5torch10headeronly6detail27GenericPackedTensorAccessorINS5_14TensorAccessorIN3c108ArrayRefIlEEKT_Lm2ENS4_16DefaultPtrTraitsElEENS_6detail16IndexBoundsCheckILm3ElEESC_Lm3ESD_lEENS6_INS7_ISA_SB_Lm2ESD_lEESH_SB_Lm3ESD_lEEiii,comdat
.Lfunc_end18:
	.size	_ZN2at6native12_GLOBAL__N_132replication_pad_forward_kernel1dIfEEvN5torch10headeronly6detail27GenericPackedTensorAccessorINS5_14TensorAccessorIN3c108ArrayRefIlEEKT_Lm2ENS4_16DefaultPtrTraitsElEENS_6detail16IndexBoundsCheckILm3ElEESC_Lm3ESD_lEENS6_INS7_ISA_SB_Lm2ESD_lEESH_SB_Lm3ESD_lEEiii, .Lfunc_end18-_ZN2at6native12_GLOBAL__N_132replication_pad_forward_kernel1dIfEEvN5torch10headeronly6detail27GenericPackedTensorAccessorINS5_14TensorAccessorIN3c108ArrayRefIlEEKT_Lm2ENS4_16DefaultPtrTraitsElEENS_6detail16IndexBoundsCheckILm3ElEESC_Lm3ESD_lEENS6_INS7_ISA_SB_Lm2ESD_lEESH_SB_Lm3ESD_lEEiii
                                        ; -- End function
	.section	.AMDGPU.csdata,"",@progbits
; Kernel info:
; codeLenInByte = 1364
; NumSgprs: 22
; NumVgprs: 11
; ScratchSize: 0
; MemoryBound: 0
; FloatMode: 240
; IeeeMode: 1
; LDSByteSize: 0 bytes/workgroup (compile time only)
; SGPRBlocks: 2
; VGPRBlocks: 1
; NumSGPRsForWavesPerEU: 22
; NumVGPRsForWavesPerEU: 11
; Occupancy: 16
; WaveLimiterHint : 1
; COMPUTE_PGM_RSRC2:SCRATCH_EN: 0
; COMPUTE_PGM_RSRC2:USER_SGPR: 13
; COMPUTE_PGM_RSRC2:TRAP_HANDLER: 0
; COMPUTE_PGM_RSRC2:TGID_X_EN: 1
; COMPUTE_PGM_RSRC2:TGID_Y_EN: 1
; COMPUTE_PGM_RSRC2:TGID_Z_EN: 1
; COMPUTE_PGM_RSRC2:TIDIG_COMP_CNT: 0
	.section	.text._ZN2at6native12_GLOBAL__N_132replication_pad_forward_kernel1dIN3c107complexIdEEEEvN5torch10headeronly6detail27GenericPackedTensorAccessorINS8_14TensorAccessorINS3_8ArrayRefIlEEKT_Lm2ENS7_16DefaultPtrTraitsElEENS_6detail16IndexBoundsCheckILm3ElEESE_Lm3ESF_lEENS9_INSA_ISC_SD_Lm2ESF_lEESJ_SD_Lm3ESF_lEEiii,"axG",@progbits,_ZN2at6native12_GLOBAL__N_132replication_pad_forward_kernel1dIN3c107complexIdEEEEvN5torch10headeronly6detail27GenericPackedTensorAccessorINS8_14TensorAccessorINS3_8ArrayRefIlEEKT_Lm2ENS7_16DefaultPtrTraitsElEENS_6detail16IndexBoundsCheckILm3ElEESE_Lm3ESF_lEENS9_INSA_ISC_SD_Lm2ESF_lEESJ_SD_Lm3ESF_lEEiii,comdat
	.globl	_ZN2at6native12_GLOBAL__N_132replication_pad_forward_kernel1dIN3c107complexIdEEEEvN5torch10headeronly6detail27GenericPackedTensorAccessorINS8_14TensorAccessorINS3_8ArrayRefIlEEKT_Lm2ENS7_16DefaultPtrTraitsElEENS_6detail16IndexBoundsCheckILm3ElEESE_Lm3ESF_lEENS9_INSA_ISC_SD_Lm2ESF_lEESJ_SD_Lm3ESF_lEEiii ; -- Begin function _ZN2at6native12_GLOBAL__N_132replication_pad_forward_kernel1dIN3c107complexIdEEEEvN5torch10headeronly6detail27GenericPackedTensorAccessorINS8_14TensorAccessorINS3_8ArrayRefIlEEKT_Lm2ENS7_16DefaultPtrTraitsElEENS_6detail16IndexBoundsCheckILm3ElEESE_Lm3ESF_lEENS9_INSA_ISC_SD_Lm2ESF_lEESJ_SD_Lm3ESF_lEEiii
	.p2align	8
	.type	_ZN2at6native12_GLOBAL__N_132replication_pad_forward_kernel1dIN3c107complexIdEEEEvN5torch10headeronly6detail27GenericPackedTensorAccessorINS8_14TensorAccessorINS3_8ArrayRefIlEEKT_Lm2ENS7_16DefaultPtrTraitsElEENS_6detail16IndexBoundsCheckILm3ElEESE_Lm3ESF_lEENS9_INSA_ISC_SD_Lm2ESF_lEESJ_SD_Lm3ESF_lEEiii,@function
_ZN2at6native12_GLOBAL__N_132replication_pad_forward_kernel1dIN3c107complexIdEEEEvN5torch10headeronly6detail27GenericPackedTensorAccessorINS8_14TensorAccessorINS3_8ArrayRefIlEEKT_Lm2ENS7_16DefaultPtrTraitsElEENS_6detail16IndexBoundsCheckILm3ElEESE_Lm3ESF_lEENS9_INSA_ISC_SD_Lm2ESF_lEESJ_SD_Lm3ESF_lEEiii: ; @_ZN2at6native12_GLOBAL__N_132replication_pad_forward_kernel1dIN3c107complexIdEEEEvN5torch10headeronly6detail27GenericPackedTensorAccessorINS8_14TensorAccessorINS3_8ArrayRefIlEEKT_Lm2ENS7_16DefaultPtrTraitsElEENS_6detail16IndexBoundsCheckILm3ElEESE_Lm3ESF_lEENS9_INSA_ISC_SD_Lm2ESF_lEESJ_SD_Lm3ESF_lEEiii
; %bb.0:
	s_clause 0x1
	s_load_b32 s2, s[0:1], 0x8c
	s_load_b64 s[4:5], s[0:1], 0x50
	v_mov_b32_e32 v4, 0
	s_delay_alu instid0(VALU_DEP_1)
	v_mov_b32_e32 v1, v4
	s_waitcnt lgkmcnt(0)
	s_and_b32 s2, s2, 0xffff
	s_delay_alu instid0(VALU_DEP_1) | instid1(SALU_CYCLE_1)
	v_mad_u64_u32 v[2:3], null, s2, s13, v[0:1]
	s_mov_b32 s2, exec_lo
	s_delay_alu instid0(VALU_DEP_1)
	v_cmpx_gt_i64_e64 s[4:5], v[2:3]
	s_cbranch_execz .LBB19_6
; %bb.1:
	v_or_b32_e32 v5, s5, v3
                                        ; implicit-def: $vgpr0_vgpr1
	s_mov_b32 s2, exec_lo
	s_delay_alu instid0(VALU_DEP_1)
	v_cmpx_ne_u64_e32 0, v[4:5]
	s_xor_b32 s3, exec_lo, s2
	s_cbranch_execz .LBB19_3
; %bb.2:
	v_cvt_f32_u32_e32 v0, s4
	v_cvt_f32_u32_e32 v1, s5
	s_sub_u32 s2, 0, s4
	s_subb_u32 s6, 0, s5
	s_delay_alu instid0(VALU_DEP_1) | instskip(NEXT) | instid1(VALU_DEP_1)
	v_fmamk_f32 v0, v1, 0x4f800000, v0
	v_rcp_f32_e32 v0, v0
	s_waitcnt_depctr 0xfff
	v_mul_f32_e32 v0, 0x5f7ffffc, v0
	s_delay_alu instid0(VALU_DEP_1) | instskip(NEXT) | instid1(VALU_DEP_1)
	v_mul_f32_e32 v1, 0x2f800000, v0
	v_trunc_f32_e32 v1, v1
	s_delay_alu instid0(VALU_DEP_1) | instskip(SKIP_1) | instid1(VALU_DEP_2)
	v_fmamk_f32 v0, v1, 0xcf800000, v0
	v_cvt_u32_f32_e32 v1, v1
	v_cvt_u32_f32_e32 v0, v0
	s_delay_alu instid0(VALU_DEP_2) | instskip(NEXT) | instid1(VALU_DEP_2)
	v_mul_lo_u32 v4, s2, v1
	v_mul_hi_u32 v5, s2, v0
	v_mul_lo_u32 v6, s6, v0
	s_delay_alu instid0(VALU_DEP_2) | instskip(SKIP_1) | instid1(VALU_DEP_2)
	v_add_nc_u32_e32 v4, v5, v4
	v_mul_lo_u32 v5, s2, v0
	v_add_nc_u32_e32 v4, v4, v6
	s_delay_alu instid0(VALU_DEP_2) | instskip(NEXT) | instid1(VALU_DEP_2)
	v_mul_hi_u32 v6, v0, v5
	v_mul_lo_u32 v7, v0, v4
	v_mul_hi_u32 v8, v0, v4
	v_mul_hi_u32 v9, v1, v5
	v_mul_lo_u32 v5, v1, v5
	v_mul_hi_u32 v10, v1, v4
	v_mul_lo_u32 v4, v1, v4
	v_add_co_u32 v6, vcc_lo, v6, v7
	v_add_co_ci_u32_e32 v7, vcc_lo, 0, v8, vcc_lo
	s_delay_alu instid0(VALU_DEP_2) | instskip(NEXT) | instid1(VALU_DEP_2)
	v_add_co_u32 v5, vcc_lo, v6, v5
	v_add_co_ci_u32_e32 v5, vcc_lo, v7, v9, vcc_lo
	v_add_co_ci_u32_e32 v6, vcc_lo, 0, v10, vcc_lo
	s_delay_alu instid0(VALU_DEP_2) | instskip(NEXT) | instid1(VALU_DEP_2)
	v_add_co_u32 v4, vcc_lo, v5, v4
	v_add_co_ci_u32_e32 v5, vcc_lo, 0, v6, vcc_lo
	s_delay_alu instid0(VALU_DEP_2) | instskip(NEXT) | instid1(VALU_DEP_2)
	v_add_co_u32 v0, vcc_lo, v0, v4
	v_add_co_ci_u32_e32 v1, vcc_lo, v1, v5, vcc_lo
	s_delay_alu instid0(VALU_DEP_2) | instskip(SKIP_1) | instid1(VALU_DEP_3)
	v_mul_hi_u32 v4, s2, v0
	v_mul_lo_u32 v6, s6, v0
	v_mul_lo_u32 v5, s2, v1
	s_delay_alu instid0(VALU_DEP_1) | instskip(SKIP_1) | instid1(VALU_DEP_2)
	v_add_nc_u32_e32 v4, v4, v5
	v_mul_lo_u32 v5, s2, v0
	v_add_nc_u32_e32 v4, v4, v6
	s_delay_alu instid0(VALU_DEP_2) | instskip(NEXT) | instid1(VALU_DEP_2)
	v_mul_hi_u32 v6, v0, v5
	v_mul_lo_u32 v7, v0, v4
	v_mul_hi_u32 v8, v0, v4
	v_mul_hi_u32 v9, v1, v5
	v_mul_lo_u32 v5, v1, v5
	v_mul_hi_u32 v10, v1, v4
	v_mul_lo_u32 v4, v1, v4
	v_add_co_u32 v6, vcc_lo, v6, v7
	v_add_co_ci_u32_e32 v7, vcc_lo, 0, v8, vcc_lo
	s_delay_alu instid0(VALU_DEP_2) | instskip(NEXT) | instid1(VALU_DEP_2)
	v_add_co_u32 v5, vcc_lo, v6, v5
	v_add_co_ci_u32_e32 v5, vcc_lo, v7, v9, vcc_lo
	v_add_co_ci_u32_e32 v6, vcc_lo, 0, v10, vcc_lo
	s_delay_alu instid0(VALU_DEP_2) | instskip(NEXT) | instid1(VALU_DEP_2)
	v_add_co_u32 v4, vcc_lo, v5, v4
	v_add_co_ci_u32_e32 v5, vcc_lo, 0, v6, vcc_lo
	s_delay_alu instid0(VALU_DEP_2) | instskip(NEXT) | instid1(VALU_DEP_2)
	v_add_co_u32 v6, vcc_lo, v0, v4
	v_add_co_ci_u32_e32 v8, vcc_lo, v1, v5, vcc_lo
	s_delay_alu instid0(VALU_DEP_2) | instskip(SKIP_1) | instid1(VALU_DEP_3)
	v_mul_hi_u32 v9, v2, v6
	v_mad_u64_u32 v[4:5], null, v3, v6, 0
	v_mad_u64_u32 v[0:1], null, v2, v8, 0
	;; [unrolled: 1-line block ×3, first 2 shown]
	s_delay_alu instid0(VALU_DEP_2) | instskip(NEXT) | instid1(VALU_DEP_3)
	v_add_co_u32 v0, vcc_lo, v9, v0
	v_add_co_ci_u32_e32 v1, vcc_lo, 0, v1, vcc_lo
	s_delay_alu instid0(VALU_DEP_2) | instskip(NEXT) | instid1(VALU_DEP_2)
	v_add_co_u32 v0, vcc_lo, v0, v4
	v_add_co_ci_u32_e32 v0, vcc_lo, v1, v5, vcc_lo
	v_add_co_ci_u32_e32 v1, vcc_lo, 0, v7, vcc_lo
	s_delay_alu instid0(VALU_DEP_2) | instskip(NEXT) | instid1(VALU_DEP_2)
	v_add_co_u32 v4, vcc_lo, v0, v6
	v_add_co_ci_u32_e32 v5, vcc_lo, 0, v1, vcc_lo
	s_delay_alu instid0(VALU_DEP_2) | instskip(SKIP_1) | instid1(VALU_DEP_3)
	v_mul_lo_u32 v6, s5, v4
	v_mad_u64_u32 v[0:1], null, s4, v4, 0
	v_mul_lo_u32 v4, s4, v5
	s_delay_alu instid0(VALU_DEP_2) | instskip(NEXT) | instid1(VALU_DEP_2)
	v_sub_co_u32 v0, vcc_lo, v2, v0
	v_add3_u32 v1, v1, v4, v6
	s_delay_alu instid0(VALU_DEP_1) | instskip(NEXT) | instid1(VALU_DEP_1)
	v_sub_nc_u32_e32 v4, v3, v1
	v_subrev_co_ci_u32_e64 v2, s2, s5, v4, vcc_lo
	v_sub_co_ci_u32_e32 v1, vcc_lo, v3, v1, vcc_lo
	v_sub_co_u32 v3, vcc_lo, v0, s4
	s_delay_alu instid0(VALU_DEP_1) | instskip(SKIP_3) | instid1(VALU_DEP_3)
	v_subrev_co_ci_u32_e64 v4, s2, 0, v2, vcc_lo
	v_cmp_le_u32_e64 s2, s4, v0
	v_subrev_co_ci_u32_e32 v2, vcc_lo, s5, v2, vcc_lo
	v_cmp_le_u32_e32 vcc_lo, s5, v1
	v_cndmask_b32_e64 v5, 0, -1, s2
	v_cmp_le_u32_e64 s2, s4, v3
	v_cndmask_b32_e64 v8, 0, -1, vcc_lo
	v_cmp_eq_u32_e32 vcc_lo, s5, v4
	s_delay_alu instid0(VALU_DEP_3) | instskip(SKIP_1) | instid1(VALU_DEP_1)
	v_cndmask_b32_e64 v6, 0, -1, s2
	v_cmp_le_u32_e64 s2, s5, v4
	v_cndmask_b32_e64 v7, 0, -1, s2
	v_cmp_eq_u32_e64 s2, s5, v1
	s_delay_alu instid0(VALU_DEP_2) | instskip(SKIP_2) | instid1(VALU_DEP_3)
	v_cndmask_b32_e32 v6, v7, v6, vcc_lo
	v_sub_co_u32 v7, vcc_lo, v3, s4
	v_subrev_co_ci_u32_e32 v2, vcc_lo, 0, v2, vcc_lo
	v_cmp_ne_u32_e32 vcc_lo, 0, v6
	v_cndmask_b32_e64 v5, v8, v5, s2
	s_delay_alu instid0(VALU_DEP_3) | instskip(NEXT) | instid1(VALU_DEP_2)
	v_dual_cndmask_b32 v2, v4, v2 :: v_dual_cndmask_b32 v3, v3, v7
	v_cmp_ne_u32_e32 vcc_lo, 0, v5
	s_delay_alu instid0(VALU_DEP_2)
	v_dual_cndmask_b32 v1, v1, v2 :: v_dual_cndmask_b32 v0, v0, v3
                                        ; implicit-def: $vgpr2_vgpr3
.LBB19_3:
	s_and_not1_saveexec_b32 s2, s3
	s_cbranch_execz .LBB19_5
; %bb.4:
	v_cvt_f32_u32_e32 v0, s4
	s_sub_i32 s3, 0, s4
	s_delay_alu instid0(VALU_DEP_1) | instskip(SKIP_2) | instid1(VALU_DEP_1)
	v_rcp_iflag_f32_e32 v0, v0
	s_waitcnt_depctr 0xfff
	v_mul_f32_e32 v0, 0x4f7ffffe, v0
	v_cvt_u32_f32_e32 v0, v0
	s_delay_alu instid0(VALU_DEP_1) | instskip(NEXT) | instid1(VALU_DEP_1)
	v_mul_lo_u32 v1, s3, v0
	v_mul_hi_u32 v1, v0, v1
	s_delay_alu instid0(VALU_DEP_1) | instskip(NEXT) | instid1(VALU_DEP_1)
	v_add_nc_u32_e32 v0, v0, v1
	v_mul_hi_u32 v0, v2, v0
	s_delay_alu instid0(VALU_DEP_1) | instskip(NEXT) | instid1(VALU_DEP_1)
	v_mul_lo_u32 v0, v0, s4
	v_sub_nc_u32_e32 v0, v2, v0
	s_delay_alu instid0(VALU_DEP_1) | instskip(SKIP_1) | instid1(VALU_DEP_2)
	v_subrev_nc_u32_e32 v1, s4, v0
	v_cmp_le_u32_e32 vcc_lo, s4, v0
	v_cndmask_b32_e32 v0, v0, v1, vcc_lo
	s_delay_alu instid0(VALU_DEP_1) | instskip(SKIP_1) | instid1(VALU_DEP_2)
	v_subrev_nc_u32_e32 v1, s4, v0
	v_cmp_le_u32_e32 vcc_lo, s4, v0
	v_dual_cndmask_b32 v0, v0, v1 :: v_dual_mov_b32 v1, 0
.LBB19_5:
	s_or_b32 exec_lo, exec_lo, s2
	s_clause 0x2
	s_load_b256 s[4:11], s[0:1], 0x18
	s_load_b128 s[16:19], s[0:1], 0x70
	s_load_b64 s[2:3], s[0:1], 0x68
	s_waitcnt lgkmcnt(0)
	s_add_i32 s4, s16, s4
	s_sub_i32 s5, 0, s16
	s_add_i32 s4, s4, -1
	s_max_i32 s12, s16, 0
	v_maxmin_i32 v2, s16, v0, s4
	s_max_i32 s4, s5, 0
	s_add_i32 s15, s15, s18
	s_sub_i32 s4, s4, s12
	s_mul_i32 s7, s7, s15
	v_add_nc_u32_e32 v4, s4, v2
	s_load_b64 s[4:5], s[0:1], 0x0
	s_add_i32 s14, s14, s17
	v_mul_lo_u32 v8, s3, v0
	s_mul_i32 s9, s9, s14
	v_ashrrev_i32_e32 v5, 31, v4
	v_mul_lo_u32 v6, s11, v4
	v_mad_u64_u32 v[2:3], null, s10, v4, 0
	v_mul_lo_u32 v1, s2, v1
	s_delay_alu instid0(VALU_DEP_4)
	v_mul_lo_u32 v4, s10, v5
	s_mul_hi_u32 s10, s6, s15
	s_mul_i32 s6, s6, s15
	s_add_i32 s7, s10, s7
	s_mul_hi_u32 s10, s8, s14
	s_lshl_b64 s[6:7], s[6:7], 4
	s_mul_i32 s8, s8, s14
	s_delay_alu instid0(VALU_DEP_1)
	v_add3_u32 v3, v3, v4, v6
	v_mad_u64_u32 v[6:7], null, s2, v0, 0
	s_waitcnt lgkmcnt(0)
	s_add_u32 s6, s4, s6
	s_addc_u32 s7, s5, s7
	s_add_i32 s9, s10, s9
	v_lshlrev_b64 v[2:3], 4, v[2:3]
	s_lshl_b64 s[4:5], s[8:9], 4
	s_delay_alu instid0(SALU_CYCLE_1) | instskip(SKIP_2) | instid1(VALU_DEP_2)
	s_add_u32 s4, s6, s4
	s_addc_u32 s5, s7, s5
	v_add3_u32 v7, v7, v1, v8
	v_add_co_u32 v2, vcc_lo, s4, v2
	v_add_co_ci_u32_e32 v3, vcc_lo, s5, v3, vcc_lo
	s_delay_alu instid0(VALU_DEP_3)
	v_lshlrev_b64 v[0:1], 4, v[6:7]
	global_load_b128 v[2:5], v[2:3], off
	s_clause 0x1
	s_load_b128 s[4:7], s[0:1], 0x58
	s_load_b64 s[0:1], s[0:1], 0x38
	s_waitcnt lgkmcnt(0)
	s_mul_i32 s5, s5, s15
	s_mul_hi_u32 s8, s4, s15
	s_mul_i32 s2, s4, s15
	s_add_i32 s3, s8, s5
	s_mul_hi_u32 s4, s6, s14
	s_lshl_b64 s[2:3], s[2:3], 4
	s_delay_alu instid0(SALU_CYCLE_1) | instskip(SKIP_4) | instid1(SALU_CYCLE_1)
	s_add_u32 s2, s0, s2
	s_mul_i32 s0, s7, s14
	s_addc_u32 s3, s1, s3
	s_add_i32 s1, s4, s0
	s_mul_i32 s0, s6, s14
	s_lshl_b64 s[0:1], s[0:1], 4
	s_delay_alu instid0(SALU_CYCLE_1)
	s_add_u32 s0, s2, s0
	s_addc_u32 s1, s3, s1
	v_add_co_u32 v0, vcc_lo, s0, v0
	v_add_co_ci_u32_e32 v1, vcc_lo, s1, v1, vcc_lo
	s_waitcnt vmcnt(0)
	global_store_b128 v[0:1], v[2:5], off
.LBB19_6:
	s_nop 0
	s_sendmsg sendmsg(MSG_DEALLOC_VGPRS)
	s_endpgm
	.section	.rodata,"a",@progbits
	.p2align	6, 0x0
	.amdhsa_kernel _ZN2at6native12_GLOBAL__N_132replication_pad_forward_kernel1dIN3c107complexIdEEEEvN5torch10headeronly6detail27GenericPackedTensorAccessorINS8_14TensorAccessorINS3_8ArrayRefIlEEKT_Lm2ENS7_16DefaultPtrTraitsElEENS_6detail16IndexBoundsCheckILm3ElEESE_Lm3ESF_lEENS9_INSA_ISC_SD_Lm2ESF_lEESJ_SD_Lm3ESF_lEEiii
		.amdhsa_group_segment_fixed_size 0
		.amdhsa_private_segment_fixed_size 0
		.amdhsa_kernarg_size 384
		.amdhsa_user_sgpr_count 13
		.amdhsa_user_sgpr_dispatch_ptr 0
		.amdhsa_user_sgpr_queue_ptr 0
		.amdhsa_user_sgpr_kernarg_segment_ptr 1
		.amdhsa_user_sgpr_dispatch_id 0
		.amdhsa_user_sgpr_private_segment_size 0
		.amdhsa_wavefront_size32 1
		.amdhsa_uses_dynamic_stack 0
		.amdhsa_enable_private_segment 0
		.amdhsa_system_sgpr_workgroup_id_x 1
		.amdhsa_system_sgpr_workgroup_id_y 1
		.amdhsa_system_sgpr_workgroup_id_z 1
		.amdhsa_system_sgpr_workgroup_info 0
		.amdhsa_system_vgpr_workitem_id 0
		.amdhsa_next_free_vgpr 11
		.amdhsa_next_free_sgpr 20
		.amdhsa_reserve_vcc 1
		.amdhsa_float_round_mode_32 0
		.amdhsa_float_round_mode_16_64 0
		.amdhsa_float_denorm_mode_32 3
		.amdhsa_float_denorm_mode_16_64 3
		.amdhsa_dx10_clamp 1
		.amdhsa_ieee_mode 1
		.amdhsa_fp16_overflow 0
		.amdhsa_workgroup_processor_mode 1
		.amdhsa_memory_ordered 1
		.amdhsa_forward_progress 0
		.amdhsa_shared_vgpr_count 0
		.amdhsa_exception_fp_ieee_invalid_op 0
		.amdhsa_exception_fp_denorm_src 0
		.amdhsa_exception_fp_ieee_div_zero 0
		.amdhsa_exception_fp_ieee_overflow 0
		.amdhsa_exception_fp_ieee_underflow 0
		.amdhsa_exception_fp_ieee_inexact 0
		.amdhsa_exception_int_div_zero 0
	.end_amdhsa_kernel
	.section	.text._ZN2at6native12_GLOBAL__N_132replication_pad_forward_kernel1dIN3c107complexIdEEEEvN5torch10headeronly6detail27GenericPackedTensorAccessorINS8_14TensorAccessorINS3_8ArrayRefIlEEKT_Lm2ENS7_16DefaultPtrTraitsElEENS_6detail16IndexBoundsCheckILm3ElEESE_Lm3ESF_lEENS9_INSA_ISC_SD_Lm2ESF_lEESJ_SD_Lm3ESF_lEEiii,"axG",@progbits,_ZN2at6native12_GLOBAL__N_132replication_pad_forward_kernel1dIN3c107complexIdEEEEvN5torch10headeronly6detail27GenericPackedTensorAccessorINS8_14TensorAccessorINS3_8ArrayRefIlEEKT_Lm2ENS7_16DefaultPtrTraitsElEENS_6detail16IndexBoundsCheckILm3ElEESE_Lm3ESF_lEENS9_INSA_ISC_SD_Lm2ESF_lEESJ_SD_Lm3ESF_lEEiii,comdat
.Lfunc_end19:
	.size	_ZN2at6native12_GLOBAL__N_132replication_pad_forward_kernel1dIN3c107complexIdEEEEvN5torch10headeronly6detail27GenericPackedTensorAccessorINS8_14TensorAccessorINS3_8ArrayRefIlEEKT_Lm2ENS7_16DefaultPtrTraitsElEENS_6detail16IndexBoundsCheckILm3ElEESE_Lm3ESF_lEENS9_INSA_ISC_SD_Lm2ESF_lEESJ_SD_Lm3ESF_lEEiii, .Lfunc_end19-_ZN2at6native12_GLOBAL__N_132replication_pad_forward_kernel1dIN3c107complexIdEEEEvN5torch10headeronly6detail27GenericPackedTensorAccessorINS8_14TensorAccessorINS3_8ArrayRefIlEEKT_Lm2ENS7_16DefaultPtrTraitsElEENS_6detail16IndexBoundsCheckILm3ElEESE_Lm3ESF_lEENS9_INSA_ISC_SD_Lm2ESF_lEESJ_SD_Lm3ESF_lEEiii
                                        ; -- End function
	.section	.AMDGPU.csdata,"",@progbits
; Kernel info:
; codeLenInByte = 1360
; NumSgprs: 22
; NumVgprs: 11
; ScratchSize: 0
; MemoryBound: 0
; FloatMode: 240
; IeeeMode: 1
; LDSByteSize: 0 bytes/workgroup (compile time only)
; SGPRBlocks: 2
; VGPRBlocks: 1
; NumSGPRsForWavesPerEU: 22
; NumVGPRsForWavesPerEU: 11
; Occupancy: 16
; WaveLimiterHint : 1
; COMPUTE_PGM_RSRC2:SCRATCH_EN: 0
; COMPUTE_PGM_RSRC2:USER_SGPR: 13
; COMPUTE_PGM_RSRC2:TRAP_HANDLER: 0
; COMPUTE_PGM_RSRC2:TGID_X_EN: 1
; COMPUTE_PGM_RSRC2:TGID_Y_EN: 1
; COMPUTE_PGM_RSRC2:TGID_Z_EN: 1
; COMPUTE_PGM_RSRC2:TIDIG_COMP_CNT: 0
	.section	.text._ZN2at6native12_GLOBAL__N_132replication_pad_forward_kernel1dIN3c107complexIfEEEEvN5torch10headeronly6detail27GenericPackedTensorAccessorINS8_14TensorAccessorINS3_8ArrayRefIlEEKT_Lm2ENS7_16DefaultPtrTraitsElEENS_6detail16IndexBoundsCheckILm3ElEESE_Lm3ESF_lEENS9_INSA_ISC_SD_Lm2ESF_lEESJ_SD_Lm3ESF_lEEiii,"axG",@progbits,_ZN2at6native12_GLOBAL__N_132replication_pad_forward_kernel1dIN3c107complexIfEEEEvN5torch10headeronly6detail27GenericPackedTensorAccessorINS8_14TensorAccessorINS3_8ArrayRefIlEEKT_Lm2ENS7_16DefaultPtrTraitsElEENS_6detail16IndexBoundsCheckILm3ElEESE_Lm3ESF_lEENS9_INSA_ISC_SD_Lm2ESF_lEESJ_SD_Lm3ESF_lEEiii,comdat
	.globl	_ZN2at6native12_GLOBAL__N_132replication_pad_forward_kernel1dIN3c107complexIfEEEEvN5torch10headeronly6detail27GenericPackedTensorAccessorINS8_14TensorAccessorINS3_8ArrayRefIlEEKT_Lm2ENS7_16DefaultPtrTraitsElEENS_6detail16IndexBoundsCheckILm3ElEESE_Lm3ESF_lEENS9_INSA_ISC_SD_Lm2ESF_lEESJ_SD_Lm3ESF_lEEiii ; -- Begin function _ZN2at6native12_GLOBAL__N_132replication_pad_forward_kernel1dIN3c107complexIfEEEEvN5torch10headeronly6detail27GenericPackedTensorAccessorINS8_14TensorAccessorINS3_8ArrayRefIlEEKT_Lm2ENS7_16DefaultPtrTraitsElEENS_6detail16IndexBoundsCheckILm3ElEESE_Lm3ESF_lEENS9_INSA_ISC_SD_Lm2ESF_lEESJ_SD_Lm3ESF_lEEiii
	.p2align	8
	.type	_ZN2at6native12_GLOBAL__N_132replication_pad_forward_kernel1dIN3c107complexIfEEEEvN5torch10headeronly6detail27GenericPackedTensorAccessorINS8_14TensorAccessorINS3_8ArrayRefIlEEKT_Lm2ENS7_16DefaultPtrTraitsElEENS_6detail16IndexBoundsCheckILm3ElEESE_Lm3ESF_lEENS9_INSA_ISC_SD_Lm2ESF_lEESJ_SD_Lm3ESF_lEEiii,@function
_ZN2at6native12_GLOBAL__N_132replication_pad_forward_kernel1dIN3c107complexIfEEEEvN5torch10headeronly6detail27GenericPackedTensorAccessorINS8_14TensorAccessorINS3_8ArrayRefIlEEKT_Lm2ENS7_16DefaultPtrTraitsElEENS_6detail16IndexBoundsCheckILm3ElEESE_Lm3ESF_lEENS9_INSA_ISC_SD_Lm2ESF_lEESJ_SD_Lm3ESF_lEEiii: ; @_ZN2at6native12_GLOBAL__N_132replication_pad_forward_kernel1dIN3c107complexIfEEEEvN5torch10headeronly6detail27GenericPackedTensorAccessorINS8_14TensorAccessorINS3_8ArrayRefIlEEKT_Lm2ENS7_16DefaultPtrTraitsElEENS_6detail16IndexBoundsCheckILm3ElEESE_Lm3ESF_lEENS9_INSA_ISC_SD_Lm2ESF_lEESJ_SD_Lm3ESF_lEEiii
; %bb.0:
	s_clause 0x1
	s_load_b32 s2, s[0:1], 0x8c
	s_load_b64 s[4:5], s[0:1], 0x50
	v_mov_b32_e32 v4, 0
	s_delay_alu instid0(VALU_DEP_1)
	v_mov_b32_e32 v1, v4
	s_waitcnt lgkmcnt(0)
	s_and_b32 s2, s2, 0xffff
	s_delay_alu instid0(VALU_DEP_1) | instid1(SALU_CYCLE_1)
	v_mad_u64_u32 v[2:3], null, s2, s13, v[0:1]
	s_mov_b32 s2, exec_lo
	s_delay_alu instid0(VALU_DEP_1)
	v_cmpx_gt_i64_e64 s[4:5], v[2:3]
	s_cbranch_execz .LBB20_6
; %bb.1:
	v_or_b32_e32 v5, s5, v3
                                        ; implicit-def: $vgpr0_vgpr1
	s_mov_b32 s2, exec_lo
	s_delay_alu instid0(VALU_DEP_1)
	v_cmpx_ne_u64_e32 0, v[4:5]
	s_xor_b32 s3, exec_lo, s2
	s_cbranch_execz .LBB20_3
; %bb.2:
	v_cvt_f32_u32_e32 v0, s4
	v_cvt_f32_u32_e32 v1, s5
	s_sub_u32 s2, 0, s4
	s_subb_u32 s6, 0, s5
	s_delay_alu instid0(VALU_DEP_1) | instskip(NEXT) | instid1(VALU_DEP_1)
	v_fmamk_f32 v0, v1, 0x4f800000, v0
	v_rcp_f32_e32 v0, v0
	s_waitcnt_depctr 0xfff
	v_mul_f32_e32 v0, 0x5f7ffffc, v0
	s_delay_alu instid0(VALU_DEP_1) | instskip(NEXT) | instid1(VALU_DEP_1)
	v_mul_f32_e32 v1, 0x2f800000, v0
	v_trunc_f32_e32 v1, v1
	s_delay_alu instid0(VALU_DEP_1) | instskip(SKIP_1) | instid1(VALU_DEP_2)
	v_fmamk_f32 v0, v1, 0xcf800000, v0
	v_cvt_u32_f32_e32 v1, v1
	v_cvt_u32_f32_e32 v0, v0
	s_delay_alu instid0(VALU_DEP_2) | instskip(NEXT) | instid1(VALU_DEP_2)
	v_mul_lo_u32 v4, s2, v1
	v_mul_hi_u32 v5, s2, v0
	v_mul_lo_u32 v6, s6, v0
	s_delay_alu instid0(VALU_DEP_2) | instskip(SKIP_1) | instid1(VALU_DEP_2)
	v_add_nc_u32_e32 v4, v5, v4
	v_mul_lo_u32 v5, s2, v0
	v_add_nc_u32_e32 v4, v4, v6
	s_delay_alu instid0(VALU_DEP_2) | instskip(NEXT) | instid1(VALU_DEP_2)
	v_mul_hi_u32 v6, v0, v5
	v_mul_lo_u32 v7, v0, v4
	v_mul_hi_u32 v8, v0, v4
	v_mul_hi_u32 v9, v1, v5
	v_mul_lo_u32 v5, v1, v5
	v_mul_hi_u32 v10, v1, v4
	v_mul_lo_u32 v4, v1, v4
	v_add_co_u32 v6, vcc_lo, v6, v7
	v_add_co_ci_u32_e32 v7, vcc_lo, 0, v8, vcc_lo
	s_delay_alu instid0(VALU_DEP_2) | instskip(NEXT) | instid1(VALU_DEP_2)
	v_add_co_u32 v5, vcc_lo, v6, v5
	v_add_co_ci_u32_e32 v5, vcc_lo, v7, v9, vcc_lo
	v_add_co_ci_u32_e32 v6, vcc_lo, 0, v10, vcc_lo
	s_delay_alu instid0(VALU_DEP_2) | instskip(NEXT) | instid1(VALU_DEP_2)
	v_add_co_u32 v4, vcc_lo, v5, v4
	v_add_co_ci_u32_e32 v5, vcc_lo, 0, v6, vcc_lo
	s_delay_alu instid0(VALU_DEP_2) | instskip(NEXT) | instid1(VALU_DEP_2)
	v_add_co_u32 v0, vcc_lo, v0, v4
	v_add_co_ci_u32_e32 v1, vcc_lo, v1, v5, vcc_lo
	s_delay_alu instid0(VALU_DEP_2) | instskip(SKIP_1) | instid1(VALU_DEP_3)
	v_mul_hi_u32 v4, s2, v0
	v_mul_lo_u32 v6, s6, v0
	v_mul_lo_u32 v5, s2, v1
	s_delay_alu instid0(VALU_DEP_1) | instskip(SKIP_1) | instid1(VALU_DEP_2)
	v_add_nc_u32_e32 v4, v4, v5
	v_mul_lo_u32 v5, s2, v0
	v_add_nc_u32_e32 v4, v4, v6
	s_delay_alu instid0(VALU_DEP_2) | instskip(NEXT) | instid1(VALU_DEP_2)
	v_mul_hi_u32 v6, v0, v5
	v_mul_lo_u32 v7, v0, v4
	v_mul_hi_u32 v8, v0, v4
	v_mul_hi_u32 v9, v1, v5
	v_mul_lo_u32 v5, v1, v5
	v_mul_hi_u32 v10, v1, v4
	v_mul_lo_u32 v4, v1, v4
	v_add_co_u32 v6, vcc_lo, v6, v7
	v_add_co_ci_u32_e32 v7, vcc_lo, 0, v8, vcc_lo
	s_delay_alu instid0(VALU_DEP_2) | instskip(NEXT) | instid1(VALU_DEP_2)
	v_add_co_u32 v5, vcc_lo, v6, v5
	v_add_co_ci_u32_e32 v5, vcc_lo, v7, v9, vcc_lo
	v_add_co_ci_u32_e32 v6, vcc_lo, 0, v10, vcc_lo
	s_delay_alu instid0(VALU_DEP_2) | instskip(NEXT) | instid1(VALU_DEP_2)
	v_add_co_u32 v4, vcc_lo, v5, v4
	v_add_co_ci_u32_e32 v5, vcc_lo, 0, v6, vcc_lo
	s_delay_alu instid0(VALU_DEP_2) | instskip(NEXT) | instid1(VALU_DEP_2)
	v_add_co_u32 v6, vcc_lo, v0, v4
	v_add_co_ci_u32_e32 v8, vcc_lo, v1, v5, vcc_lo
	s_delay_alu instid0(VALU_DEP_2) | instskip(SKIP_1) | instid1(VALU_DEP_3)
	v_mul_hi_u32 v9, v2, v6
	v_mad_u64_u32 v[4:5], null, v3, v6, 0
	v_mad_u64_u32 v[0:1], null, v2, v8, 0
	;; [unrolled: 1-line block ×3, first 2 shown]
	s_delay_alu instid0(VALU_DEP_2) | instskip(NEXT) | instid1(VALU_DEP_3)
	v_add_co_u32 v0, vcc_lo, v9, v0
	v_add_co_ci_u32_e32 v1, vcc_lo, 0, v1, vcc_lo
	s_delay_alu instid0(VALU_DEP_2) | instskip(NEXT) | instid1(VALU_DEP_2)
	v_add_co_u32 v0, vcc_lo, v0, v4
	v_add_co_ci_u32_e32 v0, vcc_lo, v1, v5, vcc_lo
	v_add_co_ci_u32_e32 v1, vcc_lo, 0, v7, vcc_lo
	s_delay_alu instid0(VALU_DEP_2) | instskip(NEXT) | instid1(VALU_DEP_2)
	v_add_co_u32 v4, vcc_lo, v0, v6
	v_add_co_ci_u32_e32 v5, vcc_lo, 0, v1, vcc_lo
	s_delay_alu instid0(VALU_DEP_2) | instskip(SKIP_1) | instid1(VALU_DEP_3)
	v_mul_lo_u32 v6, s5, v4
	v_mad_u64_u32 v[0:1], null, s4, v4, 0
	v_mul_lo_u32 v4, s4, v5
	s_delay_alu instid0(VALU_DEP_2) | instskip(NEXT) | instid1(VALU_DEP_2)
	v_sub_co_u32 v0, vcc_lo, v2, v0
	v_add3_u32 v1, v1, v4, v6
	s_delay_alu instid0(VALU_DEP_1) | instskip(NEXT) | instid1(VALU_DEP_1)
	v_sub_nc_u32_e32 v4, v3, v1
	v_subrev_co_ci_u32_e64 v2, s2, s5, v4, vcc_lo
	v_sub_co_ci_u32_e32 v1, vcc_lo, v3, v1, vcc_lo
	v_sub_co_u32 v3, vcc_lo, v0, s4
	s_delay_alu instid0(VALU_DEP_1) | instskip(SKIP_3) | instid1(VALU_DEP_3)
	v_subrev_co_ci_u32_e64 v4, s2, 0, v2, vcc_lo
	v_cmp_le_u32_e64 s2, s4, v0
	v_subrev_co_ci_u32_e32 v2, vcc_lo, s5, v2, vcc_lo
	v_cmp_le_u32_e32 vcc_lo, s5, v1
	v_cndmask_b32_e64 v5, 0, -1, s2
	v_cmp_le_u32_e64 s2, s4, v3
	v_cndmask_b32_e64 v8, 0, -1, vcc_lo
	v_cmp_eq_u32_e32 vcc_lo, s5, v4
	s_delay_alu instid0(VALU_DEP_3) | instskip(SKIP_1) | instid1(VALU_DEP_1)
	v_cndmask_b32_e64 v6, 0, -1, s2
	v_cmp_le_u32_e64 s2, s5, v4
	v_cndmask_b32_e64 v7, 0, -1, s2
	v_cmp_eq_u32_e64 s2, s5, v1
	s_delay_alu instid0(VALU_DEP_2) | instskip(SKIP_2) | instid1(VALU_DEP_3)
	v_cndmask_b32_e32 v6, v7, v6, vcc_lo
	v_sub_co_u32 v7, vcc_lo, v3, s4
	v_subrev_co_ci_u32_e32 v2, vcc_lo, 0, v2, vcc_lo
	v_cmp_ne_u32_e32 vcc_lo, 0, v6
	v_cndmask_b32_e64 v5, v8, v5, s2
	s_delay_alu instid0(VALU_DEP_3) | instskip(NEXT) | instid1(VALU_DEP_2)
	v_dual_cndmask_b32 v2, v4, v2 :: v_dual_cndmask_b32 v3, v3, v7
	v_cmp_ne_u32_e32 vcc_lo, 0, v5
	s_delay_alu instid0(VALU_DEP_2)
	v_dual_cndmask_b32 v1, v1, v2 :: v_dual_cndmask_b32 v0, v0, v3
                                        ; implicit-def: $vgpr2_vgpr3
.LBB20_3:
	s_and_not1_saveexec_b32 s2, s3
	s_cbranch_execz .LBB20_5
; %bb.4:
	v_cvt_f32_u32_e32 v0, s4
	s_sub_i32 s3, 0, s4
	s_delay_alu instid0(VALU_DEP_1) | instskip(SKIP_2) | instid1(VALU_DEP_1)
	v_rcp_iflag_f32_e32 v0, v0
	s_waitcnt_depctr 0xfff
	v_mul_f32_e32 v0, 0x4f7ffffe, v0
	v_cvt_u32_f32_e32 v0, v0
	s_delay_alu instid0(VALU_DEP_1) | instskip(NEXT) | instid1(VALU_DEP_1)
	v_mul_lo_u32 v1, s3, v0
	v_mul_hi_u32 v1, v0, v1
	s_delay_alu instid0(VALU_DEP_1) | instskip(NEXT) | instid1(VALU_DEP_1)
	v_add_nc_u32_e32 v0, v0, v1
	v_mul_hi_u32 v0, v2, v0
	s_delay_alu instid0(VALU_DEP_1) | instskip(NEXT) | instid1(VALU_DEP_1)
	v_mul_lo_u32 v0, v0, s4
	v_sub_nc_u32_e32 v0, v2, v0
	s_delay_alu instid0(VALU_DEP_1) | instskip(SKIP_1) | instid1(VALU_DEP_2)
	v_subrev_nc_u32_e32 v1, s4, v0
	v_cmp_le_u32_e32 vcc_lo, s4, v0
	v_cndmask_b32_e32 v0, v0, v1, vcc_lo
	s_delay_alu instid0(VALU_DEP_1) | instskip(SKIP_1) | instid1(VALU_DEP_2)
	v_subrev_nc_u32_e32 v1, s4, v0
	v_cmp_le_u32_e32 vcc_lo, s4, v0
	v_dual_cndmask_b32 v0, v0, v1 :: v_dual_mov_b32 v1, 0
.LBB20_5:
	s_or_b32 exec_lo, exec_lo, s2
	s_clause 0x2
	s_load_b256 s[4:11], s[0:1], 0x18
	s_load_b128 s[16:19], s[0:1], 0x70
	s_load_b64 s[2:3], s[0:1], 0x68
	s_waitcnt lgkmcnt(0)
	s_add_i32 s4, s16, s4
	s_sub_i32 s5, 0, s16
	s_add_i32 s4, s4, -1
	s_max_i32 s12, s16, 0
	v_maxmin_i32 v2, s16, v0, s4
	s_max_i32 s4, s5, 0
	s_add_i32 s15, s15, s18
	s_sub_i32 s4, s4, s12
	s_mul_i32 s7, s7, s15
	v_add_nc_u32_e32 v4, s4, v2
	s_load_b64 s[4:5], s[0:1], 0x0
	s_add_i32 s14, s14, s17
	v_mul_lo_u32 v1, s2, v1
	s_mul_i32 s9, s9, s14
	v_ashrrev_i32_e32 v5, 31, v4
	v_mul_lo_u32 v6, s11, v4
	v_mad_u64_u32 v[2:3], null, s10, v4, 0
	s_delay_alu instid0(VALU_DEP_3)
	v_mul_lo_u32 v4, s10, v5
	s_mul_hi_u32 s10, s6, s15
	s_mul_i32 s6, s6, s15
	s_add_i32 s7, s10, s7
	s_mul_hi_u32 s10, s8, s14
	s_lshl_b64 s[6:7], s[6:7], 3
	s_mul_i32 s8, s8, s14
	s_delay_alu instid0(VALU_DEP_1)
	v_add3_u32 v3, v3, v4, v6
	v_mul_lo_u32 v6, s3, v0
	v_mad_u64_u32 v[4:5], null, s2, v0, 0
	s_waitcnt lgkmcnt(0)
	s_add_u32 s6, s4, s6
	s_addc_u32 s7, s5, s7
	s_add_i32 s9, s10, s9
	v_lshlrev_b64 v[2:3], 3, v[2:3]
	s_lshl_b64 s[4:5], s[8:9], 3
	s_delay_alu instid0(SALU_CYCLE_1) | instskip(SKIP_2) | instid1(VALU_DEP_2)
	s_add_u32 s4, s6, s4
	s_addc_u32 s5, s7, s5
	v_add3_u32 v5, v5, v1, v6
	v_add_co_u32 v2, vcc_lo, s4, v2
	v_add_co_ci_u32_e32 v3, vcc_lo, s5, v3, vcc_lo
	s_delay_alu instid0(VALU_DEP_3)
	v_lshlrev_b64 v[0:1], 3, v[4:5]
	global_load_b64 v[2:3], v[2:3], off
	s_clause 0x1
	s_load_b128 s[4:7], s[0:1], 0x58
	s_load_b64 s[0:1], s[0:1], 0x38
	s_waitcnt lgkmcnt(0)
	s_mul_i32 s5, s5, s15
	s_mul_hi_u32 s8, s4, s15
	s_mul_i32 s2, s4, s15
	s_add_i32 s3, s8, s5
	s_mul_hi_u32 s4, s6, s14
	s_lshl_b64 s[2:3], s[2:3], 3
	s_delay_alu instid0(SALU_CYCLE_1) | instskip(SKIP_4) | instid1(SALU_CYCLE_1)
	s_add_u32 s2, s0, s2
	s_mul_i32 s0, s7, s14
	s_addc_u32 s3, s1, s3
	s_add_i32 s1, s4, s0
	s_mul_i32 s0, s6, s14
	s_lshl_b64 s[0:1], s[0:1], 3
	s_delay_alu instid0(SALU_CYCLE_1)
	s_add_u32 s0, s2, s0
	s_addc_u32 s1, s3, s1
	v_add_co_u32 v0, vcc_lo, s0, v0
	v_add_co_ci_u32_e32 v1, vcc_lo, s1, v1, vcc_lo
	s_waitcnt vmcnt(0)
	global_store_b64 v[0:1], v[2:3], off
.LBB20_6:
	s_nop 0
	s_sendmsg sendmsg(MSG_DEALLOC_VGPRS)
	s_endpgm
	.section	.rodata,"a",@progbits
	.p2align	6, 0x0
	.amdhsa_kernel _ZN2at6native12_GLOBAL__N_132replication_pad_forward_kernel1dIN3c107complexIfEEEEvN5torch10headeronly6detail27GenericPackedTensorAccessorINS8_14TensorAccessorINS3_8ArrayRefIlEEKT_Lm2ENS7_16DefaultPtrTraitsElEENS_6detail16IndexBoundsCheckILm3ElEESE_Lm3ESF_lEENS9_INSA_ISC_SD_Lm2ESF_lEESJ_SD_Lm3ESF_lEEiii
		.amdhsa_group_segment_fixed_size 0
		.amdhsa_private_segment_fixed_size 0
		.amdhsa_kernarg_size 384
		.amdhsa_user_sgpr_count 13
		.amdhsa_user_sgpr_dispatch_ptr 0
		.amdhsa_user_sgpr_queue_ptr 0
		.amdhsa_user_sgpr_kernarg_segment_ptr 1
		.amdhsa_user_sgpr_dispatch_id 0
		.amdhsa_user_sgpr_private_segment_size 0
		.amdhsa_wavefront_size32 1
		.amdhsa_uses_dynamic_stack 0
		.amdhsa_enable_private_segment 0
		.amdhsa_system_sgpr_workgroup_id_x 1
		.amdhsa_system_sgpr_workgroup_id_y 1
		.amdhsa_system_sgpr_workgroup_id_z 1
		.amdhsa_system_sgpr_workgroup_info 0
		.amdhsa_system_vgpr_workitem_id 0
		.amdhsa_next_free_vgpr 11
		.amdhsa_next_free_sgpr 20
		.amdhsa_reserve_vcc 1
		.amdhsa_float_round_mode_32 0
		.amdhsa_float_round_mode_16_64 0
		.amdhsa_float_denorm_mode_32 3
		.amdhsa_float_denorm_mode_16_64 3
		.amdhsa_dx10_clamp 1
		.amdhsa_ieee_mode 1
		.amdhsa_fp16_overflow 0
		.amdhsa_workgroup_processor_mode 1
		.amdhsa_memory_ordered 1
		.amdhsa_forward_progress 0
		.amdhsa_shared_vgpr_count 0
		.amdhsa_exception_fp_ieee_invalid_op 0
		.amdhsa_exception_fp_denorm_src 0
		.amdhsa_exception_fp_ieee_div_zero 0
		.amdhsa_exception_fp_ieee_overflow 0
		.amdhsa_exception_fp_ieee_underflow 0
		.amdhsa_exception_fp_ieee_inexact 0
		.amdhsa_exception_int_div_zero 0
	.end_amdhsa_kernel
	.section	.text._ZN2at6native12_GLOBAL__N_132replication_pad_forward_kernel1dIN3c107complexIfEEEEvN5torch10headeronly6detail27GenericPackedTensorAccessorINS8_14TensorAccessorINS3_8ArrayRefIlEEKT_Lm2ENS7_16DefaultPtrTraitsElEENS_6detail16IndexBoundsCheckILm3ElEESE_Lm3ESF_lEENS9_INSA_ISC_SD_Lm2ESF_lEESJ_SD_Lm3ESF_lEEiii,"axG",@progbits,_ZN2at6native12_GLOBAL__N_132replication_pad_forward_kernel1dIN3c107complexIfEEEEvN5torch10headeronly6detail27GenericPackedTensorAccessorINS8_14TensorAccessorINS3_8ArrayRefIlEEKT_Lm2ENS7_16DefaultPtrTraitsElEENS_6detail16IndexBoundsCheckILm3ElEESE_Lm3ESF_lEENS9_INSA_ISC_SD_Lm2ESF_lEESJ_SD_Lm3ESF_lEEiii,comdat
.Lfunc_end20:
	.size	_ZN2at6native12_GLOBAL__N_132replication_pad_forward_kernel1dIN3c107complexIfEEEEvN5torch10headeronly6detail27GenericPackedTensorAccessorINS8_14TensorAccessorINS3_8ArrayRefIlEEKT_Lm2ENS7_16DefaultPtrTraitsElEENS_6detail16IndexBoundsCheckILm3ElEESE_Lm3ESF_lEENS9_INSA_ISC_SD_Lm2ESF_lEESJ_SD_Lm3ESF_lEEiii, .Lfunc_end20-_ZN2at6native12_GLOBAL__N_132replication_pad_forward_kernel1dIN3c107complexIfEEEEvN5torch10headeronly6detail27GenericPackedTensorAccessorINS8_14TensorAccessorINS3_8ArrayRefIlEEKT_Lm2ENS7_16DefaultPtrTraitsElEENS_6detail16IndexBoundsCheckILm3ElEESE_Lm3ESF_lEENS9_INSA_ISC_SD_Lm2ESF_lEESJ_SD_Lm3ESF_lEEiii
                                        ; -- End function
	.section	.AMDGPU.csdata,"",@progbits
; Kernel info:
; codeLenInByte = 1360
; NumSgprs: 22
; NumVgprs: 11
; ScratchSize: 0
; MemoryBound: 0
; FloatMode: 240
; IeeeMode: 1
; LDSByteSize: 0 bytes/workgroup (compile time only)
; SGPRBlocks: 2
; VGPRBlocks: 1
; NumSGPRsForWavesPerEU: 22
; NumVGPRsForWavesPerEU: 11
; Occupancy: 16
; WaveLimiterHint : 1
; COMPUTE_PGM_RSRC2:SCRATCH_EN: 0
; COMPUTE_PGM_RSRC2:USER_SGPR: 13
; COMPUTE_PGM_RSRC2:TRAP_HANDLER: 0
; COMPUTE_PGM_RSRC2:TGID_X_EN: 1
; COMPUTE_PGM_RSRC2:TGID_Y_EN: 1
; COMPUTE_PGM_RSRC2:TGID_Z_EN: 1
; COMPUTE_PGM_RSRC2:TIDIG_COMP_CNT: 0
	.section	.text._ZN2at6native12_GLOBAL__N_132replication_pad_forward_kernel1dIN3c104HalfEEEvN5torch10headeronly6detail27GenericPackedTensorAccessorINS7_14TensorAccessorINS3_8ArrayRefIlEEKT_Lm2ENS6_16DefaultPtrTraitsElEENS_6detail16IndexBoundsCheckILm3ElEESD_Lm3ESE_lEENS8_INS9_ISB_SC_Lm2ESE_lEESI_SC_Lm3ESE_lEEiii,"axG",@progbits,_ZN2at6native12_GLOBAL__N_132replication_pad_forward_kernel1dIN3c104HalfEEEvN5torch10headeronly6detail27GenericPackedTensorAccessorINS7_14TensorAccessorINS3_8ArrayRefIlEEKT_Lm2ENS6_16DefaultPtrTraitsElEENS_6detail16IndexBoundsCheckILm3ElEESD_Lm3ESE_lEENS8_INS9_ISB_SC_Lm2ESE_lEESI_SC_Lm3ESE_lEEiii,comdat
	.globl	_ZN2at6native12_GLOBAL__N_132replication_pad_forward_kernel1dIN3c104HalfEEEvN5torch10headeronly6detail27GenericPackedTensorAccessorINS7_14TensorAccessorINS3_8ArrayRefIlEEKT_Lm2ENS6_16DefaultPtrTraitsElEENS_6detail16IndexBoundsCheckILm3ElEESD_Lm3ESE_lEENS8_INS9_ISB_SC_Lm2ESE_lEESI_SC_Lm3ESE_lEEiii ; -- Begin function _ZN2at6native12_GLOBAL__N_132replication_pad_forward_kernel1dIN3c104HalfEEEvN5torch10headeronly6detail27GenericPackedTensorAccessorINS7_14TensorAccessorINS3_8ArrayRefIlEEKT_Lm2ENS6_16DefaultPtrTraitsElEENS_6detail16IndexBoundsCheckILm3ElEESD_Lm3ESE_lEENS8_INS9_ISB_SC_Lm2ESE_lEESI_SC_Lm3ESE_lEEiii
	.p2align	8
	.type	_ZN2at6native12_GLOBAL__N_132replication_pad_forward_kernel1dIN3c104HalfEEEvN5torch10headeronly6detail27GenericPackedTensorAccessorINS7_14TensorAccessorINS3_8ArrayRefIlEEKT_Lm2ENS6_16DefaultPtrTraitsElEENS_6detail16IndexBoundsCheckILm3ElEESD_Lm3ESE_lEENS8_INS9_ISB_SC_Lm2ESE_lEESI_SC_Lm3ESE_lEEiii,@function
_ZN2at6native12_GLOBAL__N_132replication_pad_forward_kernel1dIN3c104HalfEEEvN5torch10headeronly6detail27GenericPackedTensorAccessorINS7_14TensorAccessorINS3_8ArrayRefIlEEKT_Lm2ENS6_16DefaultPtrTraitsElEENS_6detail16IndexBoundsCheckILm3ElEESD_Lm3ESE_lEENS8_INS9_ISB_SC_Lm2ESE_lEESI_SC_Lm3ESE_lEEiii: ; @_ZN2at6native12_GLOBAL__N_132replication_pad_forward_kernel1dIN3c104HalfEEEvN5torch10headeronly6detail27GenericPackedTensorAccessorINS7_14TensorAccessorINS3_8ArrayRefIlEEKT_Lm2ENS6_16DefaultPtrTraitsElEENS_6detail16IndexBoundsCheckILm3ElEESD_Lm3ESE_lEENS8_INS9_ISB_SC_Lm2ESE_lEESI_SC_Lm3ESE_lEEiii
; %bb.0:
	s_clause 0x1
	s_load_b32 s2, s[0:1], 0x8c
	s_load_b64 s[4:5], s[0:1], 0x50
	v_mov_b32_e32 v4, 0
	s_delay_alu instid0(VALU_DEP_1)
	v_mov_b32_e32 v1, v4
	s_waitcnt lgkmcnt(0)
	s_and_b32 s2, s2, 0xffff
	s_delay_alu instid0(VALU_DEP_1) | instid1(SALU_CYCLE_1)
	v_mad_u64_u32 v[2:3], null, s2, s13, v[0:1]
	s_mov_b32 s2, exec_lo
	s_delay_alu instid0(VALU_DEP_1)
	v_cmpx_gt_i64_e64 s[4:5], v[2:3]
	s_cbranch_execz .LBB21_6
; %bb.1:
	v_or_b32_e32 v5, s5, v3
                                        ; implicit-def: $vgpr0_vgpr1
	s_mov_b32 s2, exec_lo
	s_delay_alu instid0(VALU_DEP_1)
	v_cmpx_ne_u64_e32 0, v[4:5]
	s_xor_b32 s3, exec_lo, s2
	s_cbranch_execz .LBB21_3
; %bb.2:
	v_cvt_f32_u32_e32 v0, s4
	v_cvt_f32_u32_e32 v1, s5
	s_sub_u32 s2, 0, s4
	s_subb_u32 s6, 0, s5
	s_delay_alu instid0(VALU_DEP_1) | instskip(NEXT) | instid1(VALU_DEP_1)
	v_fmamk_f32 v0, v1, 0x4f800000, v0
	v_rcp_f32_e32 v0, v0
	s_waitcnt_depctr 0xfff
	v_mul_f32_e32 v0, 0x5f7ffffc, v0
	s_delay_alu instid0(VALU_DEP_1) | instskip(NEXT) | instid1(VALU_DEP_1)
	v_mul_f32_e32 v1, 0x2f800000, v0
	v_trunc_f32_e32 v1, v1
	s_delay_alu instid0(VALU_DEP_1) | instskip(SKIP_1) | instid1(VALU_DEP_2)
	v_fmamk_f32 v0, v1, 0xcf800000, v0
	v_cvt_u32_f32_e32 v1, v1
	v_cvt_u32_f32_e32 v0, v0
	s_delay_alu instid0(VALU_DEP_2) | instskip(NEXT) | instid1(VALU_DEP_2)
	v_mul_lo_u32 v4, s2, v1
	v_mul_hi_u32 v5, s2, v0
	v_mul_lo_u32 v6, s6, v0
	s_delay_alu instid0(VALU_DEP_2) | instskip(SKIP_1) | instid1(VALU_DEP_2)
	v_add_nc_u32_e32 v4, v5, v4
	v_mul_lo_u32 v5, s2, v0
	v_add_nc_u32_e32 v4, v4, v6
	s_delay_alu instid0(VALU_DEP_2) | instskip(NEXT) | instid1(VALU_DEP_2)
	v_mul_hi_u32 v6, v0, v5
	v_mul_lo_u32 v7, v0, v4
	v_mul_hi_u32 v8, v0, v4
	v_mul_hi_u32 v9, v1, v5
	v_mul_lo_u32 v5, v1, v5
	v_mul_hi_u32 v10, v1, v4
	v_mul_lo_u32 v4, v1, v4
	v_add_co_u32 v6, vcc_lo, v6, v7
	v_add_co_ci_u32_e32 v7, vcc_lo, 0, v8, vcc_lo
	s_delay_alu instid0(VALU_DEP_2) | instskip(NEXT) | instid1(VALU_DEP_2)
	v_add_co_u32 v5, vcc_lo, v6, v5
	v_add_co_ci_u32_e32 v5, vcc_lo, v7, v9, vcc_lo
	v_add_co_ci_u32_e32 v6, vcc_lo, 0, v10, vcc_lo
	s_delay_alu instid0(VALU_DEP_2) | instskip(NEXT) | instid1(VALU_DEP_2)
	v_add_co_u32 v4, vcc_lo, v5, v4
	v_add_co_ci_u32_e32 v5, vcc_lo, 0, v6, vcc_lo
	s_delay_alu instid0(VALU_DEP_2) | instskip(NEXT) | instid1(VALU_DEP_2)
	v_add_co_u32 v0, vcc_lo, v0, v4
	v_add_co_ci_u32_e32 v1, vcc_lo, v1, v5, vcc_lo
	s_delay_alu instid0(VALU_DEP_2) | instskip(SKIP_1) | instid1(VALU_DEP_3)
	v_mul_hi_u32 v4, s2, v0
	v_mul_lo_u32 v6, s6, v0
	v_mul_lo_u32 v5, s2, v1
	s_delay_alu instid0(VALU_DEP_1) | instskip(SKIP_1) | instid1(VALU_DEP_2)
	v_add_nc_u32_e32 v4, v4, v5
	v_mul_lo_u32 v5, s2, v0
	v_add_nc_u32_e32 v4, v4, v6
	s_delay_alu instid0(VALU_DEP_2) | instskip(NEXT) | instid1(VALU_DEP_2)
	v_mul_hi_u32 v6, v0, v5
	v_mul_lo_u32 v7, v0, v4
	v_mul_hi_u32 v8, v0, v4
	v_mul_hi_u32 v9, v1, v5
	v_mul_lo_u32 v5, v1, v5
	v_mul_hi_u32 v10, v1, v4
	v_mul_lo_u32 v4, v1, v4
	v_add_co_u32 v6, vcc_lo, v6, v7
	v_add_co_ci_u32_e32 v7, vcc_lo, 0, v8, vcc_lo
	s_delay_alu instid0(VALU_DEP_2) | instskip(NEXT) | instid1(VALU_DEP_2)
	v_add_co_u32 v5, vcc_lo, v6, v5
	v_add_co_ci_u32_e32 v5, vcc_lo, v7, v9, vcc_lo
	v_add_co_ci_u32_e32 v6, vcc_lo, 0, v10, vcc_lo
	s_delay_alu instid0(VALU_DEP_2) | instskip(NEXT) | instid1(VALU_DEP_2)
	v_add_co_u32 v4, vcc_lo, v5, v4
	v_add_co_ci_u32_e32 v5, vcc_lo, 0, v6, vcc_lo
	s_delay_alu instid0(VALU_DEP_2) | instskip(NEXT) | instid1(VALU_DEP_2)
	v_add_co_u32 v6, vcc_lo, v0, v4
	v_add_co_ci_u32_e32 v8, vcc_lo, v1, v5, vcc_lo
	s_delay_alu instid0(VALU_DEP_2) | instskip(SKIP_1) | instid1(VALU_DEP_3)
	v_mul_hi_u32 v9, v2, v6
	v_mad_u64_u32 v[4:5], null, v3, v6, 0
	v_mad_u64_u32 v[0:1], null, v2, v8, 0
	;; [unrolled: 1-line block ×3, first 2 shown]
	s_delay_alu instid0(VALU_DEP_2) | instskip(NEXT) | instid1(VALU_DEP_3)
	v_add_co_u32 v0, vcc_lo, v9, v0
	v_add_co_ci_u32_e32 v1, vcc_lo, 0, v1, vcc_lo
	s_delay_alu instid0(VALU_DEP_2) | instskip(NEXT) | instid1(VALU_DEP_2)
	v_add_co_u32 v0, vcc_lo, v0, v4
	v_add_co_ci_u32_e32 v0, vcc_lo, v1, v5, vcc_lo
	v_add_co_ci_u32_e32 v1, vcc_lo, 0, v7, vcc_lo
	s_delay_alu instid0(VALU_DEP_2) | instskip(NEXT) | instid1(VALU_DEP_2)
	v_add_co_u32 v4, vcc_lo, v0, v6
	v_add_co_ci_u32_e32 v5, vcc_lo, 0, v1, vcc_lo
	s_delay_alu instid0(VALU_DEP_2) | instskip(SKIP_1) | instid1(VALU_DEP_3)
	v_mul_lo_u32 v6, s5, v4
	v_mad_u64_u32 v[0:1], null, s4, v4, 0
	v_mul_lo_u32 v4, s4, v5
	s_delay_alu instid0(VALU_DEP_2) | instskip(NEXT) | instid1(VALU_DEP_2)
	v_sub_co_u32 v0, vcc_lo, v2, v0
	v_add3_u32 v1, v1, v4, v6
	s_delay_alu instid0(VALU_DEP_1) | instskip(NEXT) | instid1(VALU_DEP_1)
	v_sub_nc_u32_e32 v4, v3, v1
	v_subrev_co_ci_u32_e64 v2, s2, s5, v4, vcc_lo
	v_sub_co_ci_u32_e32 v1, vcc_lo, v3, v1, vcc_lo
	v_sub_co_u32 v3, vcc_lo, v0, s4
	s_delay_alu instid0(VALU_DEP_1) | instskip(SKIP_3) | instid1(VALU_DEP_3)
	v_subrev_co_ci_u32_e64 v4, s2, 0, v2, vcc_lo
	v_cmp_le_u32_e64 s2, s4, v0
	v_subrev_co_ci_u32_e32 v2, vcc_lo, s5, v2, vcc_lo
	v_cmp_le_u32_e32 vcc_lo, s5, v1
	v_cndmask_b32_e64 v5, 0, -1, s2
	v_cmp_le_u32_e64 s2, s4, v3
	v_cndmask_b32_e64 v8, 0, -1, vcc_lo
	v_cmp_eq_u32_e32 vcc_lo, s5, v4
	s_delay_alu instid0(VALU_DEP_3) | instskip(SKIP_1) | instid1(VALU_DEP_1)
	v_cndmask_b32_e64 v6, 0, -1, s2
	v_cmp_le_u32_e64 s2, s5, v4
	v_cndmask_b32_e64 v7, 0, -1, s2
	v_cmp_eq_u32_e64 s2, s5, v1
	s_delay_alu instid0(VALU_DEP_2) | instskip(SKIP_2) | instid1(VALU_DEP_3)
	v_cndmask_b32_e32 v6, v7, v6, vcc_lo
	v_sub_co_u32 v7, vcc_lo, v3, s4
	v_subrev_co_ci_u32_e32 v2, vcc_lo, 0, v2, vcc_lo
	v_cmp_ne_u32_e32 vcc_lo, 0, v6
	v_cndmask_b32_e64 v5, v8, v5, s2
	s_delay_alu instid0(VALU_DEP_3) | instskip(NEXT) | instid1(VALU_DEP_2)
	v_dual_cndmask_b32 v2, v4, v2 :: v_dual_cndmask_b32 v3, v3, v7
	v_cmp_ne_u32_e32 vcc_lo, 0, v5
	s_delay_alu instid0(VALU_DEP_2)
	v_dual_cndmask_b32 v1, v1, v2 :: v_dual_cndmask_b32 v0, v0, v3
                                        ; implicit-def: $vgpr2_vgpr3
.LBB21_3:
	s_and_not1_saveexec_b32 s2, s3
	s_cbranch_execz .LBB21_5
; %bb.4:
	v_cvt_f32_u32_e32 v0, s4
	s_sub_i32 s3, 0, s4
	s_delay_alu instid0(VALU_DEP_1) | instskip(SKIP_2) | instid1(VALU_DEP_1)
	v_rcp_iflag_f32_e32 v0, v0
	s_waitcnt_depctr 0xfff
	v_mul_f32_e32 v0, 0x4f7ffffe, v0
	v_cvt_u32_f32_e32 v0, v0
	s_delay_alu instid0(VALU_DEP_1) | instskip(NEXT) | instid1(VALU_DEP_1)
	v_mul_lo_u32 v1, s3, v0
	v_mul_hi_u32 v1, v0, v1
	s_delay_alu instid0(VALU_DEP_1) | instskip(NEXT) | instid1(VALU_DEP_1)
	v_add_nc_u32_e32 v0, v0, v1
	v_mul_hi_u32 v0, v2, v0
	s_delay_alu instid0(VALU_DEP_1) | instskip(NEXT) | instid1(VALU_DEP_1)
	v_mul_lo_u32 v0, v0, s4
	v_sub_nc_u32_e32 v0, v2, v0
	s_delay_alu instid0(VALU_DEP_1) | instskip(SKIP_1) | instid1(VALU_DEP_2)
	v_subrev_nc_u32_e32 v1, s4, v0
	v_cmp_le_u32_e32 vcc_lo, s4, v0
	v_cndmask_b32_e32 v0, v0, v1, vcc_lo
	s_delay_alu instid0(VALU_DEP_1) | instskip(SKIP_1) | instid1(VALU_DEP_2)
	v_subrev_nc_u32_e32 v1, s4, v0
	v_cmp_le_u32_e32 vcc_lo, s4, v0
	v_dual_cndmask_b32 v0, v0, v1 :: v_dual_mov_b32 v1, 0
.LBB21_5:
	s_or_b32 exec_lo, exec_lo, s2
	s_clause 0x2
	s_load_b256 s[4:11], s[0:1], 0x18
	s_load_b128 s[16:19], s[0:1], 0x70
	s_load_b64 s[2:3], s[0:1], 0x68
	s_waitcnt lgkmcnt(0)
	s_add_i32 s4, s16, s4
	s_sub_i32 s5, 0, s16
	s_add_i32 s4, s4, -1
	s_max_i32 s12, s16, 0
	v_maxmin_i32 v2, s16, v0, s4
	s_max_i32 s4, s5, 0
	s_add_i32 s15, s15, s18
	s_sub_i32 s4, s4, s12
	s_mul_i32 s7, s7, s15
	v_add_nc_u32_e32 v4, s4, v2
	s_load_b64 s[4:5], s[0:1], 0x0
	s_add_i32 s14, s14, s17
	s_delay_alu instid0(SALU_CYCLE_1) | instskip(NEXT) | instid1(VALU_DEP_1)
	s_mul_i32 s9, s9, s14
	v_ashrrev_i32_e32 v5, 31, v4
	v_mul_lo_u32 v6, s11, v4
	v_mad_u64_u32 v[2:3], null, s10, v4, 0
	s_delay_alu instid0(VALU_DEP_3)
	v_mul_lo_u32 v4, s10, v5
	s_mul_hi_u32 s10, s6, s15
	s_mul_i32 s6, s6, s15
	s_add_i32 s7, s10, s7
	s_mul_hi_u32 s10, s8, s14
	s_lshl_b64 s[6:7], s[6:7], 1
	s_mul_i32 s8, s8, s14
	v_mul_lo_u32 v5, s2, v1
	v_add3_u32 v3, v3, v4, v6
	v_mul_lo_u32 v4, s3, v0
	s_waitcnt lgkmcnt(0)
	s_add_u32 s6, s4, s6
	s_addc_u32 s7, s5, s7
	s_add_i32 s9, s10, s9
	v_lshlrev_b64 v[2:3], 1, v[2:3]
	s_lshl_b64 s[4:5], s[8:9], 1
	s_delay_alu instid0(SALU_CYCLE_1) | instskip(SKIP_1) | instid1(VALU_DEP_1)
	s_add_u32 s4, s6, s4
	s_addc_u32 s5, s7, s5
	v_add_co_u32 v2, vcc_lo, s4, v2
	s_delay_alu instid0(VALU_DEP_2)
	v_add_co_ci_u32_e32 v3, vcc_lo, s5, v3, vcc_lo
	global_load_u16 v3, v[2:3], off
	s_clause 0x1
	s_load_b128 s[4:7], s[0:1], 0x58
	s_load_b64 s[0:1], s[0:1], 0x38
	v_mad_u64_u32 v[1:2], null, s2, v0, 0
	s_delay_alu instid0(VALU_DEP_1) | instskip(NEXT) | instid1(VALU_DEP_1)
	v_add3_u32 v2, v2, v5, v4
	v_lshlrev_b64 v[0:1], 1, v[1:2]
	s_waitcnt lgkmcnt(0)
	s_mul_i32 s5, s5, s15
	s_mul_hi_u32 s8, s4, s15
	s_mul_i32 s2, s4, s15
	s_add_i32 s3, s8, s5
	s_mul_hi_u32 s4, s6, s14
	s_lshl_b64 s[2:3], s[2:3], 1
	s_delay_alu instid0(SALU_CYCLE_1) | instskip(SKIP_4) | instid1(SALU_CYCLE_1)
	s_add_u32 s2, s0, s2
	s_mul_i32 s0, s7, s14
	s_addc_u32 s3, s1, s3
	s_add_i32 s1, s4, s0
	s_mul_i32 s0, s6, s14
	s_lshl_b64 s[0:1], s[0:1], 1
	s_delay_alu instid0(SALU_CYCLE_1)
	s_add_u32 s0, s2, s0
	s_addc_u32 s1, s3, s1
	v_add_co_u32 v0, vcc_lo, s0, v0
	v_add_co_ci_u32_e32 v1, vcc_lo, s1, v1, vcc_lo
	s_waitcnt vmcnt(0)
	global_store_b16 v[0:1], v3, off
.LBB21_6:
	s_nop 0
	s_sendmsg sendmsg(MSG_DEALLOC_VGPRS)
	s_endpgm
	.section	.rodata,"a",@progbits
	.p2align	6, 0x0
	.amdhsa_kernel _ZN2at6native12_GLOBAL__N_132replication_pad_forward_kernel1dIN3c104HalfEEEvN5torch10headeronly6detail27GenericPackedTensorAccessorINS7_14TensorAccessorINS3_8ArrayRefIlEEKT_Lm2ENS6_16DefaultPtrTraitsElEENS_6detail16IndexBoundsCheckILm3ElEESD_Lm3ESE_lEENS8_INS9_ISB_SC_Lm2ESE_lEESI_SC_Lm3ESE_lEEiii
		.amdhsa_group_segment_fixed_size 0
		.amdhsa_private_segment_fixed_size 0
		.amdhsa_kernarg_size 384
		.amdhsa_user_sgpr_count 13
		.amdhsa_user_sgpr_dispatch_ptr 0
		.amdhsa_user_sgpr_queue_ptr 0
		.amdhsa_user_sgpr_kernarg_segment_ptr 1
		.amdhsa_user_sgpr_dispatch_id 0
		.amdhsa_user_sgpr_private_segment_size 0
		.amdhsa_wavefront_size32 1
		.amdhsa_uses_dynamic_stack 0
		.amdhsa_enable_private_segment 0
		.amdhsa_system_sgpr_workgroup_id_x 1
		.amdhsa_system_sgpr_workgroup_id_y 1
		.amdhsa_system_sgpr_workgroup_id_z 1
		.amdhsa_system_sgpr_workgroup_info 0
		.amdhsa_system_vgpr_workitem_id 0
		.amdhsa_next_free_vgpr 11
		.amdhsa_next_free_sgpr 20
		.amdhsa_reserve_vcc 1
		.amdhsa_float_round_mode_32 0
		.amdhsa_float_round_mode_16_64 0
		.amdhsa_float_denorm_mode_32 3
		.amdhsa_float_denorm_mode_16_64 3
		.amdhsa_dx10_clamp 1
		.amdhsa_ieee_mode 1
		.amdhsa_fp16_overflow 0
		.amdhsa_workgroup_processor_mode 1
		.amdhsa_memory_ordered 1
		.amdhsa_forward_progress 0
		.amdhsa_shared_vgpr_count 0
		.amdhsa_exception_fp_ieee_invalid_op 0
		.amdhsa_exception_fp_denorm_src 0
		.amdhsa_exception_fp_ieee_div_zero 0
		.amdhsa_exception_fp_ieee_overflow 0
		.amdhsa_exception_fp_ieee_underflow 0
		.amdhsa_exception_fp_ieee_inexact 0
		.amdhsa_exception_int_div_zero 0
	.end_amdhsa_kernel
	.section	.text._ZN2at6native12_GLOBAL__N_132replication_pad_forward_kernel1dIN3c104HalfEEEvN5torch10headeronly6detail27GenericPackedTensorAccessorINS7_14TensorAccessorINS3_8ArrayRefIlEEKT_Lm2ENS6_16DefaultPtrTraitsElEENS_6detail16IndexBoundsCheckILm3ElEESD_Lm3ESE_lEENS8_INS9_ISB_SC_Lm2ESE_lEESI_SC_Lm3ESE_lEEiii,"axG",@progbits,_ZN2at6native12_GLOBAL__N_132replication_pad_forward_kernel1dIN3c104HalfEEEvN5torch10headeronly6detail27GenericPackedTensorAccessorINS7_14TensorAccessorINS3_8ArrayRefIlEEKT_Lm2ENS6_16DefaultPtrTraitsElEENS_6detail16IndexBoundsCheckILm3ElEESD_Lm3ESE_lEENS8_INS9_ISB_SC_Lm2ESE_lEESI_SC_Lm3ESE_lEEiii,comdat
.Lfunc_end21:
	.size	_ZN2at6native12_GLOBAL__N_132replication_pad_forward_kernel1dIN3c104HalfEEEvN5torch10headeronly6detail27GenericPackedTensorAccessorINS7_14TensorAccessorINS3_8ArrayRefIlEEKT_Lm2ENS6_16DefaultPtrTraitsElEENS_6detail16IndexBoundsCheckILm3ElEESD_Lm3ESE_lEENS8_INS9_ISB_SC_Lm2ESE_lEESI_SC_Lm3ESE_lEEiii, .Lfunc_end21-_ZN2at6native12_GLOBAL__N_132replication_pad_forward_kernel1dIN3c104HalfEEEvN5torch10headeronly6detail27GenericPackedTensorAccessorINS7_14TensorAccessorINS3_8ArrayRefIlEEKT_Lm2ENS6_16DefaultPtrTraitsElEENS_6detail16IndexBoundsCheckILm3ElEESD_Lm3ESE_lEENS8_INS9_ISB_SC_Lm2ESE_lEESI_SC_Lm3ESE_lEEiii
                                        ; -- End function
	.section	.AMDGPU.csdata,"",@progbits
; Kernel info:
; codeLenInByte = 1364
; NumSgprs: 22
; NumVgprs: 11
; ScratchSize: 0
; MemoryBound: 0
; FloatMode: 240
; IeeeMode: 1
; LDSByteSize: 0 bytes/workgroup (compile time only)
; SGPRBlocks: 2
; VGPRBlocks: 1
; NumSGPRsForWavesPerEU: 22
; NumVGPRsForWavesPerEU: 11
; Occupancy: 16
; WaveLimiterHint : 1
; COMPUTE_PGM_RSRC2:SCRATCH_EN: 0
; COMPUTE_PGM_RSRC2:USER_SGPR: 13
; COMPUTE_PGM_RSRC2:TRAP_HANDLER: 0
; COMPUTE_PGM_RSRC2:TGID_X_EN: 1
; COMPUTE_PGM_RSRC2:TGID_Y_EN: 1
; COMPUTE_PGM_RSRC2:TGID_Z_EN: 1
; COMPUTE_PGM_RSRC2:TIDIG_COMP_CNT: 0
	.section	.text._ZN2at6native12_GLOBAL__N_132replication_pad_forward_kernel1dIN3c108BFloat16EEEvN5torch10headeronly6detail27GenericPackedTensorAccessorINS7_14TensorAccessorINS3_8ArrayRefIlEEKT_Lm2ENS6_16DefaultPtrTraitsElEENS_6detail16IndexBoundsCheckILm3ElEESD_Lm3ESE_lEENS8_INS9_ISB_SC_Lm2ESE_lEESI_SC_Lm3ESE_lEEiii,"axG",@progbits,_ZN2at6native12_GLOBAL__N_132replication_pad_forward_kernel1dIN3c108BFloat16EEEvN5torch10headeronly6detail27GenericPackedTensorAccessorINS7_14TensorAccessorINS3_8ArrayRefIlEEKT_Lm2ENS6_16DefaultPtrTraitsElEENS_6detail16IndexBoundsCheckILm3ElEESD_Lm3ESE_lEENS8_INS9_ISB_SC_Lm2ESE_lEESI_SC_Lm3ESE_lEEiii,comdat
	.globl	_ZN2at6native12_GLOBAL__N_132replication_pad_forward_kernel1dIN3c108BFloat16EEEvN5torch10headeronly6detail27GenericPackedTensorAccessorINS7_14TensorAccessorINS3_8ArrayRefIlEEKT_Lm2ENS6_16DefaultPtrTraitsElEENS_6detail16IndexBoundsCheckILm3ElEESD_Lm3ESE_lEENS8_INS9_ISB_SC_Lm2ESE_lEESI_SC_Lm3ESE_lEEiii ; -- Begin function _ZN2at6native12_GLOBAL__N_132replication_pad_forward_kernel1dIN3c108BFloat16EEEvN5torch10headeronly6detail27GenericPackedTensorAccessorINS7_14TensorAccessorINS3_8ArrayRefIlEEKT_Lm2ENS6_16DefaultPtrTraitsElEENS_6detail16IndexBoundsCheckILm3ElEESD_Lm3ESE_lEENS8_INS9_ISB_SC_Lm2ESE_lEESI_SC_Lm3ESE_lEEiii
	.p2align	8
	.type	_ZN2at6native12_GLOBAL__N_132replication_pad_forward_kernel1dIN3c108BFloat16EEEvN5torch10headeronly6detail27GenericPackedTensorAccessorINS7_14TensorAccessorINS3_8ArrayRefIlEEKT_Lm2ENS6_16DefaultPtrTraitsElEENS_6detail16IndexBoundsCheckILm3ElEESD_Lm3ESE_lEENS8_INS9_ISB_SC_Lm2ESE_lEESI_SC_Lm3ESE_lEEiii,@function
_ZN2at6native12_GLOBAL__N_132replication_pad_forward_kernel1dIN3c108BFloat16EEEvN5torch10headeronly6detail27GenericPackedTensorAccessorINS7_14TensorAccessorINS3_8ArrayRefIlEEKT_Lm2ENS6_16DefaultPtrTraitsElEENS_6detail16IndexBoundsCheckILm3ElEESD_Lm3ESE_lEENS8_INS9_ISB_SC_Lm2ESE_lEESI_SC_Lm3ESE_lEEiii: ; @_ZN2at6native12_GLOBAL__N_132replication_pad_forward_kernel1dIN3c108BFloat16EEEvN5torch10headeronly6detail27GenericPackedTensorAccessorINS7_14TensorAccessorINS3_8ArrayRefIlEEKT_Lm2ENS6_16DefaultPtrTraitsElEENS_6detail16IndexBoundsCheckILm3ElEESD_Lm3ESE_lEENS8_INS9_ISB_SC_Lm2ESE_lEESI_SC_Lm3ESE_lEEiii
; %bb.0:
	s_clause 0x1
	s_load_b32 s2, s[0:1], 0x8c
	s_load_b64 s[4:5], s[0:1], 0x50
	v_mov_b32_e32 v4, 0
	s_delay_alu instid0(VALU_DEP_1)
	v_mov_b32_e32 v1, v4
	s_waitcnt lgkmcnt(0)
	s_and_b32 s2, s2, 0xffff
	s_delay_alu instid0(VALU_DEP_1) | instid1(SALU_CYCLE_1)
	v_mad_u64_u32 v[2:3], null, s2, s13, v[0:1]
	s_mov_b32 s2, exec_lo
	s_delay_alu instid0(VALU_DEP_1)
	v_cmpx_gt_i64_e64 s[4:5], v[2:3]
	s_cbranch_execz .LBB22_6
; %bb.1:
	v_or_b32_e32 v5, s5, v3
                                        ; implicit-def: $vgpr0_vgpr1
	s_mov_b32 s2, exec_lo
	s_delay_alu instid0(VALU_DEP_1)
	v_cmpx_ne_u64_e32 0, v[4:5]
	s_xor_b32 s3, exec_lo, s2
	s_cbranch_execz .LBB22_3
; %bb.2:
	v_cvt_f32_u32_e32 v0, s4
	v_cvt_f32_u32_e32 v1, s5
	s_sub_u32 s2, 0, s4
	s_subb_u32 s6, 0, s5
	s_delay_alu instid0(VALU_DEP_1) | instskip(NEXT) | instid1(VALU_DEP_1)
	v_fmamk_f32 v0, v1, 0x4f800000, v0
	v_rcp_f32_e32 v0, v0
	s_waitcnt_depctr 0xfff
	v_mul_f32_e32 v0, 0x5f7ffffc, v0
	s_delay_alu instid0(VALU_DEP_1) | instskip(NEXT) | instid1(VALU_DEP_1)
	v_mul_f32_e32 v1, 0x2f800000, v0
	v_trunc_f32_e32 v1, v1
	s_delay_alu instid0(VALU_DEP_1) | instskip(SKIP_1) | instid1(VALU_DEP_2)
	v_fmamk_f32 v0, v1, 0xcf800000, v0
	v_cvt_u32_f32_e32 v1, v1
	v_cvt_u32_f32_e32 v0, v0
	s_delay_alu instid0(VALU_DEP_2) | instskip(NEXT) | instid1(VALU_DEP_2)
	v_mul_lo_u32 v4, s2, v1
	v_mul_hi_u32 v5, s2, v0
	v_mul_lo_u32 v6, s6, v0
	s_delay_alu instid0(VALU_DEP_2) | instskip(SKIP_1) | instid1(VALU_DEP_2)
	v_add_nc_u32_e32 v4, v5, v4
	v_mul_lo_u32 v5, s2, v0
	v_add_nc_u32_e32 v4, v4, v6
	s_delay_alu instid0(VALU_DEP_2) | instskip(NEXT) | instid1(VALU_DEP_2)
	v_mul_hi_u32 v6, v0, v5
	v_mul_lo_u32 v7, v0, v4
	v_mul_hi_u32 v8, v0, v4
	v_mul_hi_u32 v9, v1, v5
	v_mul_lo_u32 v5, v1, v5
	v_mul_hi_u32 v10, v1, v4
	v_mul_lo_u32 v4, v1, v4
	v_add_co_u32 v6, vcc_lo, v6, v7
	v_add_co_ci_u32_e32 v7, vcc_lo, 0, v8, vcc_lo
	s_delay_alu instid0(VALU_DEP_2) | instskip(NEXT) | instid1(VALU_DEP_2)
	v_add_co_u32 v5, vcc_lo, v6, v5
	v_add_co_ci_u32_e32 v5, vcc_lo, v7, v9, vcc_lo
	v_add_co_ci_u32_e32 v6, vcc_lo, 0, v10, vcc_lo
	s_delay_alu instid0(VALU_DEP_2) | instskip(NEXT) | instid1(VALU_DEP_2)
	v_add_co_u32 v4, vcc_lo, v5, v4
	v_add_co_ci_u32_e32 v5, vcc_lo, 0, v6, vcc_lo
	s_delay_alu instid0(VALU_DEP_2) | instskip(NEXT) | instid1(VALU_DEP_2)
	v_add_co_u32 v0, vcc_lo, v0, v4
	v_add_co_ci_u32_e32 v1, vcc_lo, v1, v5, vcc_lo
	s_delay_alu instid0(VALU_DEP_2) | instskip(SKIP_1) | instid1(VALU_DEP_3)
	v_mul_hi_u32 v4, s2, v0
	v_mul_lo_u32 v6, s6, v0
	v_mul_lo_u32 v5, s2, v1
	s_delay_alu instid0(VALU_DEP_1) | instskip(SKIP_1) | instid1(VALU_DEP_2)
	v_add_nc_u32_e32 v4, v4, v5
	v_mul_lo_u32 v5, s2, v0
	v_add_nc_u32_e32 v4, v4, v6
	s_delay_alu instid0(VALU_DEP_2) | instskip(NEXT) | instid1(VALU_DEP_2)
	v_mul_hi_u32 v6, v0, v5
	v_mul_lo_u32 v7, v0, v4
	v_mul_hi_u32 v8, v0, v4
	v_mul_hi_u32 v9, v1, v5
	v_mul_lo_u32 v5, v1, v5
	v_mul_hi_u32 v10, v1, v4
	v_mul_lo_u32 v4, v1, v4
	v_add_co_u32 v6, vcc_lo, v6, v7
	v_add_co_ci_u32_e32 v7, vcc_lo, 0, v8, vcc_lo
	s_delay_alu instid0(VALU_DEP_2) | instskip(NEXT) | instid1(VALU_DEP_2)
	v_add_co_u32 v5, vcc_lo, v6, v5
	v_add_co_ci_u32_e32 v5, vcc_lo, v7, v9, vcc_lo
	v_add_co_ci_u32_e32 v6, vcc_lo, 0, v10, vcc_lo
	s_delay_alu instid0(VALU_DEP_2) | instskip(NEXT) | instid1(VALU_DEP_2)
	v_add_co_u32 v4, vcc_lo, v5, v4
	v_add_co_ci_u32_e32 v5, vcc_lo, 0, v6, vcc_lo
	s_delay_alu instid0(VALU_DEP_2) | instskip(NEXT) | instid1(VALU_DEP_2)
	v_add_co_u32 v6, vcc_lo, v0, v4
	v_add_co_ci_u32_e32 v8, vcc_lo, v1, v5, vcc_lo
	s_delay_alu instid0(VALU_DEP_2) | instskip(SKIP_1) | instid1(VALU_DEP_3)
	v_mul_hi_u32 v9, v2, v6
	v_mad_u64_u32 v[4:5], null, v3, v6, 0
	v_mad_u64_u32 v[0:1], null, v2, v8, 0
	;; [unrolled: 1-line block ×3, first 2 shown]
	s_delay_alu instid0(VALU_DEP_2) | instskip(NEXT) | instid1(VALU_DEP_3)
	v_add_co_u32 v0, vcc_lo, v9, v0
	v_add_co_ci_u32_e32 v1, vcc_lo, 0, v1, vcc_lo
	s_delay_alu instid0(VALU_DEP_2) | instskip(NEXT) | instid1(VALU_DEP_2)
	v_add_co_u32 v0, vcc_lo, v0, v4
	v_add_co_ci_u32_e32 v0, vcc_lo, v1, v5, vcc_lo
	v_add_co_ci_u32_e32 v1, vcc_lo, 0, v7, vcc_lo
	s_delay_alu instid0(VALU_DEP_2) | instskip(NEXT) | instid1(VALU_DEP_2)
	v_add_co_u32 v4, vcc_lo, v0, v6
	v_add_co_ci_u32_e32 v5, vcc_lo, 0, v1, vcc_lo
	s_delay_alu instid0(VALU_DEP_2) | instskip(SKIP_1) | instid1(VALU_DEP_3)
	v_mul_lo_u32 v6, s5, v4
	v_mad_u64_u32 v[0:1], null, s4, v4, 0
	v_mul_lo_u32 v4, s4, v5
	s_delay_alu instid0(VALU_DEP_2) | instskip(NEXT) | instid1(VALU_DEP_2)
	v_sub_co_u32 v0, vcc_lo, v2, v0
	v_add3_u32 v1, v1, v4, v6
	s_delay_alu instid0(VALU_DEP_1) | instskip(NEXT) | instid1(VALU_DEP_1)
	v_sub_nc_u32_e32 v4, v3, v1
	v_subrev_co_ci_u32_e64 v2, s2, s5, v4, vcc_lo
	v_sub_co_ci_u32_e32 v1, vcc_lo, v3, v1, vcc_lo
	v_sub_co_u32 v3, vcc_lo, v0, s4
	s_delay_alu instid0(VALU_DEP_1) | instskip(SKIP_3) | instid1(VALU_DEP_3)
	v_subrev_co_ci_u32_e64 v4, s2, 0, v2, vcc_lo
	v_cmp_le_u32_e64 s2, s4, v0
	v_subrev_co_ci_u32_e32 v2, vcc_lo, s5, v2, vcc_lo
	v_cmp_le_u32_e32 vcc_lo, s5, v1
	v_cndmask_b32_e64 v5, 0, -1, s2
	v_cmp_le_u32_e64 s2, s4, v3
	v_cndmask_b32_e64 v8, 0, -1, vcc_lo
	v_cmp_eq_u32_e32 vcc_lo, s5, v4
	s_delay_alu instid0(VALU_DEP_3) | instskip(SKIP_1) | instid1(VALU_DEP_1)
	v_cndmask_b32_e64 v6, 0, -1, s2
	v_cmp_le_u32_e64 s2, s5, v4
	v_cndmask_b32_e64 v7, 0, -1, s2
	v_cmp_eq_u32_e64 s2, s5, v1
	s_delay_alu instid0(VALU_DEP_2) | instskip(SKIP_2) | instid1(VALU_DEP_3)
	v_cndmask_b32_e32 v6, v7, v6, vcc_lo
	v_sub_co_u32 v7, vcc_lo, v3, s4
	v_subrev_co_ci_u32_e32 v2, vcc_lo, 0, v2, vcc_lo
	v_cmp_ne_u32_e32 vcc_lo, 0, v6
	v_cndmask_b32_e64 v5, v8, v5, s2
	s_delay_alu instid0(VALU_DEP_3) | instskip(NEXT) | instid1(VALU_DEP_2)
	v_dual_cndmask_b32 v2, v4, v2 :: v_dual_cndmask_b32 v3, v3, v7
	v_cmp_ne_u32_e32 vcc_lo, 0, v5
	s_delay_alu instid0(VALU_DEP_2)
	v_dual_cndmask_b32 v1, v1, v2 :: v_dual_cndmask_b32 v0, v0, v3
                                        ; implicit-def: $vgpr2_vgpr3
.LBB22_3:
	s_and_not1_saveexec_b32 s2, s3
	s_cbranch_execz .LBB22_5
; %bb.4:
	v_cvt_f32_u32_e32 v0, s4
	s_sub_i32 s3, 0, s4
	s_delay_alu instid0(VALU_DEP_1) | instskip(SKIP_2) | instid1(VALU_DEP_1)
	v_rcp_iflag_f32_e32 v0, v0
	s_waitcnt_depctr 0xfff
	v_mul_f32_e32 v0, 0x4f7ffffe, v0
	v_cvt_u32_f32_e32 v0, v0
	s_delay_alu instid0(VALU_DEP_1) | instskip(NEXT) | instid1(VALU_DEP_1)
	v_mul_lo_u32 v1, s3, v0
	v_mul_hi_u32 v1, v0, v1
	s_delay_alu instid0(VALU_DEP_1) | instskip(NEXT) | instid1(VALU_DEP_1)
	v_add_nc_u32_e32 v0, v0, v1
	v_mul_hi_u32 v0, v2, v0
	s_delay_alu instid0(VALU_DEP_1) | instskip(NEXT) | instid1(VALU_DEP_1)
	v_mul_lo_u32 v0, v0, s4
	v_sub_nc_u32_e32 v0, v2, v0
	s_delay_alu instid0(VALU_DEP_1) | instskip(SKIP_1) | instid1(VALU_DEP_2)
	v_subrev_nc_u32_e32 v1, s4, v0
	v_cmp_le_u32_e32 vcc_lo, s4, v0
	v_cndmask_b32_e32 v0, v0, v1, vcc_lo
	s_delay_alu instid0(VALU_DEP_1) | instskip(SKIP_1) | instid1(VALU_DEP_2)
	v_subrev_nc_u32_e32 v1, s4, v0
	v_cmp_le_u32_e32 vcc_lo, s4, v0
	v_dual_cndmask_b32 v0, v0, v1 :: v_dual_mov_b32 v1, 0
.LBB22_5:
	s_or_b32 exec_lo, exec_lo, s2
	s_clause 0x2
	s_load_b256 s[4:11], s[0:1], 0x18
	s_load_b128 s[16:19], s[0:1], 0x70
	s_load_b64 s[2:3], s[0:1], 0x68
	s_waitcnt lgkmcnt(0)
	s_add_i32 s4, s16, s4
	s_sub_i32 s5, 0, s16
	s_add_i32 s4, s4, -1
	s_max_i32 s12, s16, 0
	v_maxmin_i32 v2, s16, v0, s4
	s_max_i32 s4, s5, 0
	s_add_i32 s15, s15, s18
	s_sub_i32 s4, s4, s12
	s_mul_i32 s7, s7, s15
	v_add_nc_u32_e32 v4, s4, v2
	s_load_b64 s[4:5], s[0:1], 0x0
	s_add_i32 s14, s14, s17
	s_delay_alu instid0(SALU_CYCLE_1) | instskip(NEXT) | instid1(VALU_DEP_1)
	s_mul_i32 s9, s9, s14
	v_ashrrev_i32_e32 v5, 31, v4
	v_mul_lo_u32 v6, s11, v4
	v_mad_u64_u32 v[2:3], null, s10, v4, 0
	s_delay_alu instid0(VALU_DEP_3)
	v_mul_lo_u32 v4, s10, v5
	s_mul_hi_u32 s10, s6, s15
	s_mul_i32 s6, s6, s15
	s_add_i32 s7, s10, s7
	s_mul_hi_u32 s10, s8, s14
	s_lshl_b64 s[6:7], s[6:7], 1
	s_mul_i32 s8, s8, s14
	v_mul_lo_u32 v5, s2, v1
	v_add3_u32 v3, v3, v4, v6
	v_mul_lo_u32 v4, s3, v0
	s_waitcnt lgkmcnt(0)
	s_add_u32 s6, s4, s6
	s_addc_u32 s7, s5, s7
	s_add_i32 s9, s10, s9
	v_lshlrev_b64 v[2:3], 1, v[2:3]
	s_lshl_b64 s[4:5], s[8:9], 1
	s_delay_alu instid0(SALU_CYCLE_1) | instskip(SKIP_1) | instid1(VALU_DEP_1)
	s_add_u32 s4, s6, s4
	s_addc_u32 s5, s7, s5
	v_add_co_u32 v2, vcc_lo, s4, v2
	s_delay_alu instid0(VALU_DEP_2)
	v_add_co_ci_u32_e32 v3, vcc_lo, s5, v3, vcc_lo
	global_load_u16 v3, v[2:3], off
	s_clause 0x1
	s_load_b128 s[4:7], s[0:1], 0x58
	s_load_b64 s[0:1], s[0:1], 0x38
	v_mad_u64_u32 v[1:2], null, s2, v0, 0
	s_delay_alu instid0(VALU_DEP_1) | instskip(NEXT) | instid1(VALU_DEP_1)
	v_add3_u32 v2, v2, v5, v4
	v_lshlrev_b64 v[0:1], 1, v[1:2]
	s_waitcnt lgkmcnt(0)
	s_mul_i32 s5, s5, s15
	s_mul_hi_u32 s8, s4, s15
	s_mul_i32 s2, s4, s15
	s_add_i32 s3, s8, s5
	s_mul_hi_u32 s4, s6, s14
	s_lshl_b64 s[2:3], s[2:3], 1
	s_delay_alu instid0(SALU_CYCLE_1) | instskip(SKIP_4) | instid1(SALU_CYCLE_1)
	s_add_u32 s2, s0, s2
	s_mul_i32 s0, s7, s14
	s_addc_u32 s3, s1, s3
	s_add_i32 s1, s4, s0
	s_mul_i32 s0, s6, s14
	s_lshl_b64 s[0:1], s[0:1], 1
	s_delay_alu instid0(SALU_CYCLE_1)
	s_add_u32 s0, s2, s0
	s_addc_u32 s1, s3, s1
	v_add_co_u32 v0, vcc_lo, s0, v0
	v_add_co_ci_u32_e32 v1, vcc_lo, s1, v1, vcc_lo
	s_waitcnt vmcnt(0)
	global_store_b16 v[0:1], v3, off
.LBB22_6:
	s_nop 0
	s_sendmsg sendmsg(MSG_DEALLOC_VGPRS)
	s_endpgm
	.section	.rodata,"a",@progbits
	.p2align	6, 0x0
	.amdhsa_kernel _ZN2at6native12_GLOBAL__N_132replication_pad_forward_kernel1dIN3c108BFloat16EEEvN5torch10headeronly6detail27GenericPackedTensorAccessorINS7_14TensorAccessorINS3_8ArrayRefIlEEKT_Lm2ENS6_16DefaultPtrTraitsElEENS_6detail16IndexBoundsCheckILm3ElEESD_Lm3ESE_lEENS8_INS9_ISB_SC_Lm2ESE_lEESI_SC_Lm3ESE_lEEiii
		.amdhsa_group_segment_fixed_size 0
		.amdhsa_private_segment_fixed_size 0
		.amdhsa_kernarg_size 384
		.amdhsa_user_sgpr_count 13
		.amdhsa_user_sgpr_dispatch_ptr 0
		.amdhsa_user_sgpr_queue_ptr 0
		.amdhsa_user_sgpr_kernarg_segment_ptr 1
		.amdhsa_user_sgpr_dispatch_id 0
		.amdhsa_user_sgpr_private_segment_size 0
		.amdhsa_wavefront_size32 1
		.amdhsa_uses_dynamic_stack 0
		.amdhsa_enable_private_segment 0
		.amdhsa_system_sgpr_workgroup_id_x 1
		.amdhsa_system_sgpr_workgroup_id_y 1
		.amdhsa_system_sgpr_workgroup_id_z 1
		.amdhsa_system_sgpr_workgroup_info 0
		.amdhsa_system_vgpr_workitem_id 0
		.amdhsa_next_free_vgpr 11
		.amdhsa_next_free_sgpr 20
		.amdhsa_reserve_vcc 1
		.amdhsa_float_round_mode_32 0
		.amdhsa_float_round_mode_16_64 0
		.amdhsa_float_denorm_mode_32 3
		.amdhsa_float_denorm_mode_16_64 3
		.amdhsa_dx10_clamp 1
		.amdhsa_ieee_mode 1
		.amdhsa_fp16_overflow 0
		.amdhsa_workgroup_processor_mode 1
		.amdhsa_memory_ordered 1
		.amdhsa_forward_progress 0
		.amdhsa_shared_vgpr_count 0
		.amdhsa_exception_fp_ieee_invalid_op 0
		.amdhsa_exception_fp_denorm_src 0
		.amdhsa_exception_fp_ieee_div_zero 0
		.amdhsa_exception_fp_ieee_overflow 0
		.amdhsa_exception_fp_ieee_underflow 0
		.amdhsa_exception_fp_ieee_inexact 0
		.amdhsa_exception_int_div_zero 0
	.end_amdhsa_kernel
	.section	.text._ZN2at6native12_GLOBAL__N_132replication_pad_forward_kernel1dIN3c108BFloat16EEEvN5torch10headeronly6detail27GenericPackedTensorAccessorINS7_14TensorAccessorINS3_8ArrayRefIlEEKT_Lm2ENS6_16DefaultPtrTraitsElEENS_6detail16IndexBoundsCheckILm3ElEESD_Lm3ESE_lEENS8_INS9_ISB_SC_Lm2ESE_lEESI_SC_Lm3ESE_lEEiii,"axG",@progbits,_ZN2at6native12_GLOBAL__N_132replication_pad_forward_kernel1dIN3c108BFloat16EEEvN5torch10headeronly6detail27GenericPackedTensorAccessorINS7_14TensorAccessorINS3_8ArrayRefIlEEKT_Lm2ENS6_16DefaultPtrTraitsElEENS_6detail16IndexBoundsCheckILm3ElEESD_Lm3ESE_lEENS8_INS9_ISB_SC_Lm2ESE_lEESI_SC_Lm3ESE_lEEiii,comdat
.Lfunc_end22:
	.size	_ZN2at6native12_GLOBAL__N_132replication_pad_forward_kernel1dIN3c108BFloat16EEEvN5torch10headeronly6detail27GenericPackedTensorAccessorINS7_14TensorAccessorINS3_8ArrayRefIlEEKT_Lm2ENS6_16DefaultPtrTraitsElEENS_6detail16IndexBoundsCheckILm3ElEESD_Lm3ESE_lEENS8_INS9_ISB_SC_Lm2ESE_lEESI_SC_Lm3ESE_lEEiii, .Lfunc_end22-_ZN2at6native12_GLOBAL__N_132replication_pad_forward_kernel1dIN3c108BFloat16EEEvN5torch10headeronly6detail27GenericPackedTensorAccessorINS7_14TensorAccessorINS3_8ArrayRefIlEEKT_Lm2ENS6_16DefaultPtrTraitsElEENS_6detail16IndexBoundsCheckILm3ElEESD_Lm3ESE_lEENS8_INS9_ISB_SC_Lm2ESE_lEESI_SC_Lm3ESE_lEEiii
                                        ; -- End function
	.section	.AMDGPU.csdata,"",@progbits
; Kernel info:
; codeLenInByte = 1364
; NumSgprs: 22
; NumVgprs: 11
; ScratchSize: 0
; MemoryBound: 0
; FloatMode: 240
; IeeeMode: 1
; LDSByteSize: 0 bytes/workgroup (compile time only)
; SGPRBlocks: 2
; VGPRBlocks: 1
; NumSGPRsForWavesPerEU: 22
; NumVGPRsForWavesPerEU: 11
; Occupancy: 16
; WaveLimiterHint : 1
; COMPUTE_PGM_RSRC2:SCRATCH_EN: 0
; COMPUTE_PGM_RSRC2:USER_SGPR: 13
; COMPUTE_PGM_RSRC2:TRAP_HANDLER: 0
; COMPUTE_PGM_RSRC2:TGID_X_EN: 1
; COMPUTE_PGM_RSRC2:TGID_Y_EN: 1
; COMPUTE_PGM_RSRC2:TGID_Z_EN: 1
; COMPUTE_PGM_RSRC2:TIDIG_COMP_CNT: 0
	.section	.text._ZN2at6native12_GLOBAL__N_131replication_pad_backward_kernelIdEEvN5torch10headeronly6detail27GenericPackedTensorAccessorINS5_14TensorAccessorIN3c108ArrayRefIlEET_Lm2ENS4_16DefaultPtrTraitsElEENS_6detail16IndexBoundsCheckILm3ElEESB_Lm3ESC_lEENS6_INS7_ISA_KSB_Lm2ESC_lEESG_SI_Lm3ESC_lEEiii,"axG",@progbits,_ZN2at6native12_GLOBAL__N_131replication_pad_backward_kernelIdEEvN5torch10headeronly6detail27GenericPackedTensorAccessorINS5_14TensorAccessorIN3c108ArrayRefIlEET_Lm2ENS4_16DefaultPtrTraitsElEENS_6detail16IndexBoundsCheckILm3ElEESB_Lm3ESC_lEENS6_INS7_ISA_KSB_Lm2ESC_lEESG_SI_Lm3ESC_lEEiii,comdat
	.globl	_ZN2at6native12_GLOBAL__N_131replication_pad_backward_kernelIdEEvN5torch10headeronly6detail27GenericPackedTensorAccessorINS5_14TensorAccessorIN3c108ArrayRefIlEET_Lm2ENS4_16DefaultPtrTraitsElEENS_6detail16IndexBoundsCheckILm3ElEESB_Lm3ESC_lEENS6_INS7_ISA_KSB_Lm2ESC_lEESG_SI_Lm3ESC_lEEiii ; -- Begin function _ZN2at6native12_GLOBAL__N_131replication_pad_backward_kernelIdEEvN5torch10headeronly6detail27GenericPackedTensorAccessorINS5_14TensorAccessorIN3c108ArrayRefIlEET_Lm2ENS4_16DefaultPtrTraitsElEENS_6detail16IndexBoundsCheckILm3ElEESB_Lm3ESC_lEENS6_INS7_ISA_KSB_Lm2ESC_lEESG_SI_Lm3ESC_lEEiii
	.p2align	8
	.type	_ZN2at6native12_GLOBAL__N_131replication_pad_backward_kernelIdEEvN5torch10headeronly6detail27GenericPackedTensorAccessorINS5_14TensorAccessorIN3c108ArrayRefIlEET_Lm2ENS4_16DefaultPtrTraitsElEENS_6detail16IndexBoundsCheckILm3ElEESB_Lm3ESC_lEENS6_INS7_ISA_KSB_Lm2ESC_lEESG_SI_Lm3ESC_lEEiii,@function
_ZN2at6native12_GLOBAL__N_131replication_pad_backward_kernelIdEEvN5torch10headeronly6detail27GenericPackedTensorAccessorINS5_14TensorAccessorIN3c108ArrayRefIlEET_Lm2ENS4_16DefaultPtrTraitsElEENS_6detail16IndexBoundsCheckILm3ElEESB_Lm3ESC_lEENS6_INS7_ISA_KSB_Lm2ESC_lEESG_SI_Lm3ESC_lEEiii: ; @_ZN2at6native12_GLOBAL__N_131replication_pad_backward_kernelIdEEvN5torch10headeronly6detail27GenericPackedTensorAccessorINS5_14TensorAccessorIN3c108ArrayRefIlEET_Lm2ENS4_16DefaultPtrTraitsElEENS_6detail16IndexBoundsCheckILm3ElEESB_Lm3ESC_lEENS6_INS7_ISA_KSB_Lm2ESC_lEESG_SI_Lm3ESC_lEEiii
; %bb.0:
	s_clause 0x1
	s_load_b32 s2, s[0:1], 0x8c
	s_load_b64 s[4:5], s[0:1], 0x50
	v_mov_b32_e32 v4, 0
	s_delay_alu instid0(VALU_DEP_1)
	v_mov_b32_e32 v1, v4
	s_waitcnt lgkmcnt(0)
	s_and_b32 s2, s2, 0xffff
	s_delay_alu instid0(VALU_DEP_1) | instid1(SALU_CYCLE_1)
	v_mad_u64_u32 v[2:3], null, s2, s13, v[0:1]
	s_mov_b32 s2, exec_lo
	s_delay_alu instid0(VALU_DEP_1)
	v_cmpx_gt_i64_e64 s[4:5], v[2:3]
	s_cbranch_execz .LBB23_7
; %bb.1:
	v_or_b32_e32 v5, s5, v3
                                        ; implicit-def: $vgpr0_vgpr1
	s_mov_b32 s2, exec_lo
	s_delay_alu instid0(VALU_DEP_1)
	v_cmpx_ne_u64_e32 0, v[4:5]
	s_xor_b32 s3, exec_lo, s2
	s_cbranch_execz .LBB23_3
; %bb.2:
	v_cvt_f32_u32_e32 v0, s4
	v_cvt_f32_u32_e32 v1, s5
	s_sub_u32 s2, 0, s4
	s_subb_u32 s6, 0, s5
	s_delay_alu instid0(VALU_DEP_1) | instskip(NEXT) | instid1(VALU_DEP_1)
	v_fmamk_f32 v0, v1, 0x4f800000, v0
	v_rcp_f32_e32 v0, v0
	s_waitcnt_depctr 0xfff
	v_mul_f32_e32 v0, 0x5f7ffffc, v0
	s_delay_alu instid0(VALU_DEP_1) | instskip(NEXT) | instid1(VALU_DEP_1)
	v_mul_f32_e32 v1, 0x2f800000, v0
	v_trunc_f32_e32 v1, v1
	s_delay_alu instid0(VALU_DEP_1) | instskip(SKIP_1) | instid1(VALU_DEP_2)
	v_fmamk_f32 v0, v1, 0xcf800000, v0
	v_cvt_u32_f32_e32 v1, v1
	v_cvt_u32_f32_e32 v0, v0
	s_delay_alu instid0(VALU_DEP_2) | instskip(NEXT) | instid1(VALU_DEP_2)
	v_mul_lo_u32 v4, s2, v1
	v_mul_hi_u32 v5, s2, v0
	v_mul_lo_u32 v6, s6, v0
	s_delay_alu instid0(VALU_DEP_2) | instskip(SKIP_1) | instid1(VALU_DEP_2)
	v_add_nc_u32_e32 v4, v5, v4
	v_mul_lo_u32 v5, s2, v0
	v_add_nc_u32_e32 v4, v4, v6
	s_delay_alu instid0(VALU_DEP_2) | instskip(NEXT) | instid1(VALU_DEP_2)
	v_mul_hi_u32 v6, v0, v5
	v_mul_lo_u32 v7, v0, v4
	v_mul_hi_u32 v8, v0, v4
	v_mul_hi_u32 v9, v1, v5
	v_mul_lo_u32 v5, v1, v5
	v_mul_hi_u32 v10, v1, v4
	v_mul_lo_u32 v4, v1, v4
	v_add_co_u32 v6, vcc_lo, v6, v7
	v_add_co_ci_u32_e32 v7, vcc_lo, 0, v8, vcc_lo
	s_delay_alu instid0(VALU_DEP_2) | instskip(NEXT) | instid1(VALU_DEP_2)
	v_add_co_u32 v5, vcc_lo, v6, v5
	v_add_co_ci_u32_e32 v5, vcc_lo, v7, v9, vcc_lo
	v_add_co_ci_u32_e32 v6, vcc_lo, 0, v10, vcc_lo
	s_delay_alu instid0(VALU_DEP_2) | instskip(NEXT) | instid1(VALU_DEP_2)
	v_add_co_u32 v4, vcc_lo, v5, v4
	v_add_co_ci_u32_e32 v5, vcc_lo, 0, v6, vcc_lo
	s_delay_alu instid0(VALU_DEP_2) | instskip(NEXT) | instid1(VALU_DEP_2)
	v_add_co_u32 v0, vcc_lo, v0, v4
	v_add_co_ci_u32_e32 v1, vcc_lo, v1, v5, vcc_lo
	s_delay_alu instid0(VALU_DEP_2) | instskip(SKIP_1) | instid1(VALU_DEP_3)
	v_mul_hi_u32 v4, s2, v0
	v_mul_lo_u32 v6, s6, v0
	v_mul_lo_u32 v5, s2, v1
	s_delay_alu instid0(VALU_DEP_1) | instskip(SKIP_1) | instid1(VALU_DEP_2)
	v_add_nc_u32_e32 v4, v4, v5
	v_mul_lo_u32 v5, s2, v0
	v_add_nc_u32_e32 v4, v4, v6
	s_delay_alu instid0(VALU_DEP_2) | instskip(NEXT) | instid1(VALU_DEP_2)
	v_mul_hi_u32 v6, v0, v5
	v_mul_lo_u32 v7, v0, v4
	v_mul_hi_u32 v8, v0, v4
	v_mul_hi_u32 v9, v1, v5
	v_mul_lo_u32 v5, v1, v5
	v_mul_hi_u32 v10, v1, v4
	v_mul_lo_u32 v4, v1, v4
	v_add_co_u32 v6, vcc_lo, v6, v7
	v_add_co_ci_u32_e32 v7, vcc_lo, 0, v8, vcc_lo
	s_delay_alu instid0(VALU_DEP_2) | instskip(NEXT) | instid1(VALU_DEP_2)
	v_add_co_u32 v5, vcc_lo, v6, v5
	v_add_co_ci_u32_e32 v5, vcc_lo, v7, v9, vcc_lo
	v_add_co_ci_u32_e32 v6, vcc_lo, 0, v10, vcc_lo
	s_delay_alu instid0(VALU_DEP_2) | instskip(NEXT) | instid1(VALU_DEP_2)
	v_add_co_u32 v4, vcc_lo, v5, v4
	v_add_co_ci_u32_e32 v5, vcc_lo, 0, v6, vcc_lo
	s_delay_alu instid0(VALU_DEP_2) | instskip(NEXT) | instid1(VALU_DEP_2)
	v_add_co_u32 v6, vcc_lo, v0, v4
	v_add_co_ci_u32_e32 v8, vcc_lo, v1, v5, vcc_lo
	s_delay_alu instid0(VALU_DEP_2) | instskip(SKIP_1) | instid1(VALU_DEP_3)
	v_mul_hi_u32 v9, v2, v6
	v_mad_u64_u32 v[4:5], null, v3, v6, 0
	v_mad_u64_u32 v[0:1], null, v2, v8, 0
	;; [unrolled: 1-line block ×3, first 2 shown]
	s_delay_alu instid0(VALU_DEP_2) | instskip(NEXT) | instid1(VALU_DEP_3)
	v_add_co_u32 v0, vcc_lo, v9, v0
	v_add_co_ci_u32_e32 v1, vcc_lo, 0, v1, vcc_lo
	s_delay_alu instid0(VALU_DEP_2) | instskip(NEXT) | instid1(VALU_DEP_2)
	v_add_co_u32 v0, vcc_lo, v0, v4
	v_add_co_ci_u32_e32 v0, vcc_lo, v1, v5, vcc_lo
	v_add_co_ci_u32_e32 v1, vcc_lo, 0, v7, vcc_lo
	s_delay_alu instid0(VALU_DEP_2) | instskip(NEXT) | instid1(VALU_DEP_2)
	v_add_co_u32 v4, vcc_lo, v0, v6
	v_add_co_ci_u32_e32 v5, vcc_lo, 0, v1, vcc_lo
	s_delay_alu instid0(VALU_DEP_2) | instskip(SKIP_1) | instid1(VALU_DEP_3)
	v_mul_lo_u32 v6, s5, v4
	v_mad_u64_u32 v[0:1], null, s4, v4, 0
	v_mul_lo_u32 v4, s4, v5
	s_delay_alu instid0(VALU_DEP_2) | instskip(NEXT) | instid1(VALU_DEP_2)
	v_sub_co_u32 v0, vcc_lo, v2, v0
	v_add3_u32 v1, v1, v4, v6
	s_delay_alu instid0(VALU_DEP_1) | instskip(NEXT) | instid1(VALU_DEP_1)
	v_sub_nc_u32_e32 v4, v3, v1
	v_subrev_co_ci_u32_e64 v2, s2, s5, v4, vcc_lo
	v_sub_co_ci_u32_e32 v1, vcc_lo, v3, v1, vcc_lo
	v_sub_co_u32 v3, vcc_lo, v0, s4
	s_delay_alu instid0(VALU_DEP_1) | instskip(SKIP_3) | instid1(VALU_DEP_3)
	v_subrev_co_ci_u32_e64 v4, s2, 0, v2, vcc_lo
	v_cmp_le_u32_e64 s2, s4, v0
	v_subrev_co_ci_u32_e32 v2, vcc_lo, s5, v2, vcc_lo
	v_cmp_le_u32_e32 vcc_lo, s5, v1
	v_cndmask_b32_e64 v5, 0, -1, s2
	v_cmp_le_u32_e64 s2, s4, v3
	v_cndmask_b32_e64 v8, 0, -1, vcc_lo
	v_cmp_eq_u32_e32 vcc_lo, s5, v4
	s_delay_alu instid0(VALU_DEP_3) | instskip(SKIP_1) | instid1(VALU_DEP_1)
	v_cndmask_b32_e64 v6, 0, -1, s2
	v_cmp_le_u32_e64 s2, s5, v4
	v_cndmask_b32_e64 v7, 0, -1, s2
	v_cmp_eq_u32_e64 s2, s5, v1
	s_delay_alu instid0(VALU_DEP_2) | instskip(SKIP_2) | instid1(VALU_DEP_3)
	v_cndmask_b32_e32 v6, v7, v6, vcc_lo
	v_sub_co_u32 v7, vcc_lo, v3, s4
	v_subrev_co_ci_u32_e32 v2, vcc_lo, 0, v2, vcc_lo
	v_cmp_ne_u32_e32 vcc_lo, 0, v6
	v_cndmask_b32_e64 v5, v8, v5, s2
	s_delay_alu instid0(VALU_DEP_3) | instskip(NEXT) | instid1(VALU_DEP_2)
	v_dual_cndmask_b32 v2, v4, v2 :: v_dual_cndmask_b32 v3, v3, v7
	v_cmp_ne_u32_e32 vcc_lo, 0, v5
	s_delay_alu instid0(VALU_DEP_2)
	v_dual_cndmask_b32 v1, v1, v2 :: v_dual_cndmask_b32 v0, v0, v3
                                        ; implicit-def: $vgpr2_vgpr3
.LBB23_3:
	s_and_not1_saveexec_b32 s2, s3
	s_cbranch_execz .LBB23_5
; %bb.4:
	v_cvt_f32_u32_e32 v0, s4
	s_sub_i32 s3, 0, s4
	s_delay_alu instid0(VALU_DEP_1) | instskip(SKIP_2) | instid1(VALU_DEP_1)
	v_rcp_iflag_f32_e32 v0, v0
	s_waitcnt_depctr 0xfff
	v_mul_f32_e32 v0, 0x4f7ffffe, v0
	v_cvt_u32_f32_e32 v0, v0
	s_delay_alu instid0(VALU_DEP_1) | instskip(NEXT) | instid1(VALU_DEP_1)
	v_mul_lo_u32 v1, s3, v0
	v_mul_hi_u32 v1, v0, v1
	s_delay_alu instid0(VALU_DEP_1) | instskip(NEXT) | instid1(VALU_DEP_1)
	v_add_nc_u32_e32 v0, v0, v1
	v_mul_hi_u32 v0, v2, v0
	s_delay_alu instid0(VALU_DEP_1) | instskip(NEXT) | instid1(VALU_DEP_1)
	v_mul_lo_u32 v0, v0, s4
	v_sub_nc_u32_e32 v0, v2, v0
	s_delay_alu instid0(VALU_DEP_1) | instskip(SKIP_1) | instid1(VALU_DEP_2)
	v_subrev_nc_u32_e32 v1, s4, v0
	v_cmp_le_u32_e32 vcc_lo, s4, v0
	v_cndmask_b32_e32 v0, v0, v1, vcc_lo
	s_delay_alu instid0(VALU_DEP_1) | instskip(SKIP_1) | instid1(VALU_DEP_2)
	v_subrev_nc_u32_e32 v1, s4, v0
	v_cmp_le_u32_e32 vcc_lo, s4, v0
	v_dual_cndmask_b32 v0, v0, v1 :: v_dual_mov_b32 v1, 0
.LBB23_5:
	s_or_b32 exec_lo, exec_lo, s2
	s_clause 0x5
	s_load_b128 s[16:19], s[0:1], 0x70
	s_load_b256 s[4:11], s[0:1], 0x18
	s_load_b64 s[2:3], s[0:1], 0x68
	s_load_b128 s[20:23], s[0:1], 0x58
	s_load_b64 s[12:13], s[0:1], 0x38
	s_load_b64 s[0:1], s[0:1], 0x0
	s_waitcnt lgkmcnt(0)
	s_add_i32 s15, s15, s18
	s_add_i32 s4, s16, s4
	s_sub_i32 s5, 0, s16
	s_add_i32 s18, s4, -1
	v_mul_lo_u32 v3, s3, v0
	v_mul_lo_u32 v4, s2, v1
	v_mad_u64_u32 v[1:2], null, s2, v0, 0
	v_maxmin_i32 v0, s16, v0, s18
	s_add_i32 s14, s14, s17
	s_max_i32 s17, s16, 0
	s_max_i32 s5, s5, 0
	s_mul_i32 s3, s21, s15
	s_sub_i32 s16, s5, s17
	s_mul_hi_u32 s19, s20, s15
	v_add_nc_u32_e32 v0, s16, v0
	s_mul_i32 s2, s20, s15
	s_add_i32 s3, s19, s3
	s_mul_i32 s20, s23, s14
	s_lshl_b64 s[2:3], s[2:3], 3
	v_ashrrev_i32_e32 v5, 31, v0
	s_mul_hi_u32 s21, s22, s14
	s_add_u32 s12, s12, s2
	s_mul_i32 s4, s22, s14
	s_addc_u32 s13, s13, s3
	s_add_i32 s5, s21, s20
	v_add3_u32 v2, v2, v4, v3
	v_mul_lo_u32 v5, s10, v5
	v_mul_lo_u32 v6, s11, v0
	v_mad_u64_u32 v[3:4], null, s10, v0, 0
	s_lshl_b64 s[2:3], s[4:5], 3
	s_mul_i32 s4, s7, s15
	s_add_u32 s5, s12, s2
	s_mul_hi_u32 s2, s6, s15
	s_addc_u32 s7, s13, s3
	s_add_i32 s3, s2, s4
	s_mul_i32 s2, s6, s15
	v_add3_u32 v4, v4, v5, v6
	s_lshl_b64 s[2:3], s[2:3], 3
	v_lshlrev_b64 v[0:1], 3, v[1:2]
	s_add_u32 s2, s0, s2
	s_addc_u32 s3, s1, s3
	s_mul_i32 s0, s9, s14
	s_mul_hi_u32 s1, s8, s14
	v_lshlrev_b64 v[2:3], 3, v[3:4]
	s_add_i32 s1, s1, s0
	s_mul_i32 s0, s8, s14
	v_add_co_u32 v0, vcc_lo, s5, v0
	s_lshl_b64 s[0:1], s[0:1], 3
	v_add_co_ci_u32_e32 v1, vcc_lo, s7, v1, vcc_lo
	s_add_u32 s0, s2, s0
	s_addc_u32 s1, s3, s1
	v_add_co_u32 v4, vcc_lo, s0, v2
	v_add_co_ci_u32_e32 v5, vcc_lo, s1, v3, vcc_lo
	global_load_b64 v[6:7], v[0:1], off
	global_load_b64 v[2:3], v[4:5], off
	s_mov_b32 s0, 0
.LBB23_6:                               ; =>This Inner Loop Header: Depth=1
	s_waitcnt vmcnt(0)
	v_add_f64 v[0:1], v[2:3], v[6:7]
	global_atomic_cmpswap_b64 v[0:1], v[4:5], v[0:3], off glc
	s_waitcnt vmcnt(0)
	v_cmp_eq_u64_e32 vcc_lo, v[0:1], v[2:3]
	v_dual_mov_b32 v3, v1 :: v_dual_mov_b32 v2, v0
	s_or_b32 s0, vcc_lo, s0
	s_delay_alu instid0(SALU_CYCLE_1)
	s_and_not1_b32 exec_lo, exec_lo, s0
	s_cbranch_execnz .LBB23_6
.LBB23_7:
	s_endpgm
	.section	.rodata,"a",@progbits
	.p2align	6, 0x0
	.amdhsa_kernel _ZN2at6native12_GLOBAL__N_131replication_pad_backward_kernelIdEEvN5torch10headeronly6detail27GenericPackedTensorAccessorINS5_14TensorAccessorIN3c108ArrayRefIlEET_Lm2ENS4_16DefaultPtrTraitsElEENS_6detail16IndexBoundsCheckILm3ElEESB_Lm3ESC_lEENS6_INS7_ISA_KSB_Lm2ESC_lEESG_SI_Lm3ESC_lEEiii
		.amdhsa_group_segment_fixed_size 0
		.amdhsa_private_segment_fixed_size 0
		.amdhsa_kernarg_size 384
		.amdhsa_user_sgpr_count 13
		.amdhsa_user_sgpr_dispatch_ptr 0
		.amdhsa_user_sgpr_queue_ptr 0
		.amdhsa_user_sgpr_kernarg_segment_ptr 1
		.amdhsa_user_sgpr_dispatch_id 0
		.amdhsa_user_sgpr_private_segment_size 0
		.amdhsa_wavefront_size32 1
		.amdhsa_uses_dynamic_stack 0
		.amdhsa_enable_private_segment 0
		.amdhsa_system_sgpr_workgroup_id_x 1
		.amdhsa_system_sgpr_workgroup_id_y 1
		.amdhsa_system_sgpr_workgroup_id_z 1
		.amdhsa_system_sgpr_workgroup_info 0
		.amdhsa_system_vgpr_workitem_id 0
		.amdhsa_next_free_vgpr 11
		.amdhsa_next_free_sgpr 24
		.amdhsa_reserve_vcc 1
		.amdhsa_float_round_mode_32 0
		.amdhsa_float_round_mode_16_64 0
		.amdhsa_float_denorm_mode_32 3
		.amdhsa_float_denorm_mode_16_64 3
		.amdhsa_dx10_clamp 1
		.amdhsa_ieee_mode 1
		.amdhsa_fp16_overflow 0
		.amdhsa_workgroup_processor_mode 1
		.amdhsa_memory_ordered 1
		.amdhsa_forward_progress 0
		.amdhsa_shared_vgpr_count 0
		.amdhsa_exception_fp_ieee_invalid_op 0
		.amdhsa_exception_fp_denorm_src 0
		.amdhsa_exception_fp_ieee_div_zero 0
		.amdhsa_exception_fp_ieee_overflow 0
		.amdhsa_exception_fp_ieee_underflow 0
		.amdhsa_exception_fp_ieee_inexact 0
		.amdhsa_exception_int_div_zero 0
	.end_amdhsa_kernel
	.section	.text._ZN2at6native12_GLOBAL__N_131replication_pad_backward_kernelIdEEvN5torch10headeronly6detail27GenericPackedTensorAccessorINS5_14TensorAccessorIN3c108ArrayRefIlEET_Lm2ENS4_16DefaultPtrTraitsElEENS_6detail16IndexBoundsCheckILm3ElEESB_Lm3ESC_lEENS6_INS7_ISA_KSB_Lm2ESC_lEESG_SI_Lm3ESC_lEEiii,"axG",@progbits,_ZN2at6native12_GLOBAL__N_131replication_pad_backward_kernelIdEEvN5torch10headeronly6detail27GenericPackedTensorAccessorINS5_14TensorAccessorIN3c108ArrayRefIlEET_Lm2ENS4_16DefaultPtrTraitsElEENS_6detail16IndexBoundsCheckILm3ElEESB_Lm3ESC_lEENS6_INS7_ISA_KSB_Lm2ESC_lEESG_SI_Lm3ESC_lEEiii,comdat
.Lfunc_end23:
	.size	_ZN2at6native12_GLOBAL__N_131replication_pad_backward_kernelIdEEvN5torch10headeronly6detail27GenericPackedTensorAccessorINS5_14TensorAccessorIN3c108ArrayRefIlEET_Lm2ENS4_16DefaultPtrTraitsElEENS_6detail16IndexBoundsCheckILm3ElEESB_Lm3ESC_lEENS6_INS7_ISA_KSB_Lm2ESC_lEESG_SI_Lm3ESC_lEEiii, .Lfunc_end23-_ZN2at6native12_GLOBAL__N_131replication_pad_backward_kernelIdEEvN5torch10headeronly6detail27GenericPackedTensorAccessorINS5_14TensorAccessorIN3c108ArrayRefIlEET_Lm2ENS4_16DefaultPtrTraitsElEENS_6detail16IndexBoundsCheckILm3ElEESB_Lm3ESC_lEENS6_INS7_ISA_KSB_Lm2ESC_lEESG_SI_Lm3ESC_lEEiii
                                        ; -- End function
	.section	.AMDGPU.csdata,"",@progbits
; Kernel info:
; codeLenInByte = 1368
; NumSgprs: 26
; NumVgprs: 11
; ScratchSize: 0
; MemoryBound: 0
; FloatMode: 240
; IeeeMode: 1
; LDSByteSize: 0 bytes/workgroup (compile time only)
; SGPRBlocks: 3
; VGPRBlocks: 1
; NumSGPRsForWavesPerEU: 26
; NumVGPRsForWavesPerEU: 11
; Occupancy: 16
; WaveLimiterHint : 1
; COMPUTE_PGM_RSRC2:SCRATCH_EN: 0
; COMPUTE_PGM_RSRC2:USER_SGPR: 13
; COMPUTE_PGM_RSRC2:TRAP_HANDLER: 0
; COMPUTE_PGM_RSRC2:TGID_X_EN: 1
; COMPUTE_PGM_RSRC2:TGID_Y_EN: 1
; COMPUTE_PGM_RSRC2:TGID_Z_EN: 1
; COMPUTE_PGM_RSRC2:TIDIG_COMP_CNT: 0
	.section	.text._ZN2at6native12_GLOBAL__N_131replication_pad_backward_kernelIfEEvN5torch10headeronly6detail27GenericPackedTensorAccessorINS5_14TensorAccessorIN3c108ArrayRefIlEET_Lm2ENS4_16DefaultPtrTraitsElEENS_6detail16IndexBoundsCheckILm3ElEESB_Lm3ESC_lEENS6_INS7_ISA_KSB_Lm2ESC_lEESG_SI_Lm3ESC_lEEiii,"axG",@progbits,_ZN2at6native12_GLOBAL__N_131replication_pad_backward_kernelIfEEvN5torch10headeronly6detail27GenericPackedTensorAccessorINS5_14TensorAccessorIN3c108ArrayRefIlEET_Lm2ENS4_16DefaultPtrTraitsElEENS_6detail16IndexBoundsCheckILm3ElEESB_Lm3ESC_lEENS6_INS7_ISA_KSB_Lm2ESC_lEESG_SI_Lm3ESC_lEEiii,comdat
	.globl	_ZN2at6native12_GLOBAL__N_131replication_pad_backward_kernelIfEEvN5torch10headeronly6detail27GenericPackedTensorAccessorINS5_14TensorAccessorIN3c108ArrayRefIlEET_Lm2ENS4_16DefaultPtrTraitsElEENS_6detail16IndexBoundsCheckILm3ElEESB_Lm3ESC_lEENS6_INS7_ISA_KSB_Lm2ESC_lEESG_SI_Lm3ESC_lEEiii ; -- Begin function _ZN2at6native12_GLOBAL__N_131replication_pad_backward_kernelIfEEvN5torch10headeronly6detail27GenericPackedTensorAccessorINS5_14TensorAccessorIN3c108ArrayRefIlEET_Lm2ENS4_16DefaultPtrTraitsElEENS_6detail16IndexBoundsCheckILm3ElEESB_Lm3ESC_lEENS6_INS7_ISA_KSB_Lm2ESC_lEESG_SI_Lm3ESC_lEEiii
	.p2align	8
	.type	_ZN2at6native12_GLOBAL__N_131replication_pad_backward_kernelIfEEvN5torch10headeronly6detail27GenericPackedTensorAccessorINS5_14TensorAccessorIN3c108ArrayRefIlEET_Lm2ENS4_16DefaultPtrTraitsElEENS_6detail16IndexBoundsCheckILm3ElEESB_Lm3ESC_lEENS6_INS7_ISA_KSB_Lm2ESC_lEESG_SI_Lm3ESC_lEEiii,@function
_ZN2at6native12_GLOBAL__N_131replication_pad_backward_kernelIfEEvN5torch10headeronly6detail27GenericPackedTensorAccessorINS5_14TensorAccessorIN3c108ArrayRefIlEET_Lm2ENS4_16DefaultPtrTraitsElEENS_6detail16IndexBoundsCheckILm3ElEESB_Lm3ESC_lEENS6_INS7_ISA_KSB_Lm2ESC_lEESG_SI_Lm3ESC_lEEiii: ; @_ZN2at6native12_GLOBAL__N_131replication_pad_backward_kernelIfEEvN5torch10headeronly6detail27GenericPackedTensorAccessorINS5_14TensorAccessorIN3c108ArrayRefIlEET_Lm2ENS4_16DefaultPtrTraitsElEENS_6detail16IndexBoundsCheckILm3ElEESB_Lm3ESC_lEENS6_INS7_ISA_KSB_Lm2ESC_lEESG_SI_Lm3ESC_lEEiii
; %bb.0:
	s_clause 0x1
	s_load_b32 s2, s[0:1], 0x8c
	s_load_b64 s[4:5], s[0:1], 0x50
	v_mov_b32_e32 v4, 0
	s_delay_alu instid0(VALU_DEP_1)
	v_mov_b32_e32 v1, v4
	s_waitcnt lgkmcnt(0)
	s_and_b32 s2, s2, 0xffff
	s_delay_alu instid0(VALU_DEP_1) | instid1(SALU_CYCLE_1)
	v_mad_u64_u32 v[2:3], null, s2, s13, v[0:1]
	s_mov_b32 s2, exec_lo
	s_delay_alu instid0(VALU_DEP_1)
	v_cmpx_gt_i64_e64 s[4:5], v[2:3]
	s_cbranch_execz .LBB24_7
; %bb.1:
	v_or_b32_e32 v5, s5, v3
                                        ; implicit-def: $vgpr0_vgpr1
	s_mov_b32 s2, exec_lo
	s_delay_alu instid0(VALU_DEP_1)
	v_cmpx_ne_u64_e32 0, v[4:5]
	s_xor_b32 s3, exec_lo, s2
	s_cbranch_execz .LBB24_3
; %bb.2:
	v_cvt_f32_u32_e32 v0, s4
	v_cvt_f32_u32_e32 v1, s5
	s_sub_u32 s2, 0, s4
	s_subb_u32 s6, 0, s5
	s_delay_alu instid0(VALU_DEP_1) | instskip(NEXT) | instid1(VALU_DEP_1)
	v_fmamk_f32 v0, v1, 0x4f800000, v0
	v_rcp_f32_e32 v0, v0
	s_waitcnt_depctr 0xfff
	v_mul_f32_e32 v0, 0x5f7ffffc, v0
	s_delay_alu instid0(VALU_DEP_1) | instskip(NEXT) | instid1(VALU_DEP_1)
	v_mul_f32_e32 v1, 0x2f800000, v0
	v_trunc_f32_e32 v1, v1
	s_delay_alu instid0(VALU_DEP_1) | instskip(SKIP_1) | instid1(VALU_DEP_2)
	v_fmamk_f32 v0, v1, 0xcf800000, v0
	v_cvt_u32_f32_e32 v1, v1
	v_cvt_u32_f32_e32 v0, v0
	s_delay_alu instid0(VALU_DEP_2) | instskip(NEXT) | instid1(VALU_DEP_2)
	v_mul_lo_u32 v4, s2, v1
	v_mul_hi_u32 v5, s2, v0
	v_mul_lo_u32 v6, s6, v0
	s_delay_alu instid0(VALU_DEP_2) | instskip(SKIP_1) | instid1(VALU_DEP_2)
	v_add_nc_u32_e32 v4, v5, v4
	v_mul_lo_u32 v5, s2, v0
	v_add_nc_u32_e32 v4, v4, v6
	s_delay_alu instid0(VALU_DEP_2) | instskip(NEXT) | instid1(VALU_DEP_2)
	v_mul_hi_u32 v6, v0, v5
	v_mul_lo_u32 v7, v0, v4
	v_mul_hi_u32 v8, v0, v4
	v_mul_hi_u32 v9, v1, v5
	v_mul_lo_u32 v5, v1, v5
	v_mul_hi_u32 v10, v1, v4
	v_mul_lo_u32 v4, v1, v4
	v_add_co_u32 v6, vcc_lo, v6, v7
	v_add_co_ci_u32_e32 v7, vcc_lo, 0, v8, vcc_lo
	s_delay_alu instid0(VALU_DEP_2) | instskip(NEXT) | instid1(VALU_DEP_2)
	v_add_co_u32 v5, vcc_lo, v6, v5
	v_add_co_ci_u32_e32 v5, vcc_lo, v7, v9, vcc_lo
	v_add_co_ci_u32_e32 v6, vcc_lo, 0, v10, vcc_lo
	s_delay_alu instid0(VALU_DEP_2) | instskip(NEXT) | instid1(VALU_DEP_2)
	v_add_co_u32 v4, vcc_lo, v5, v4
	v_add_co_ci_u32_e32 v5, vcc_lo, 0, v6, vcc_lo
	s_delay_alu instid0(VALU_DEP_2) | instskip(NEXT) | instid1(VALU_DEP_2)
	v_add_co_u32 v0, vcc_lo, v0, v4
	v_add_co_ci_u32_e32 v1, vcc_lo, v1, v5, vcc_lo
	s_delay_alu instid0(VALU_DEP_2) | instskip(SKIP_1) | instid1(VALU_DEP_3)
	v_mul_hi_u32 v4, s2, v0
	v_mul_lo_u32 v6, s6, v0
	v_mul_lo_u32 v5, s2, v1
	s_delay_alu instid0(VALU_DEP_1) | instskip(SKIP_1) | instid1(VALU_DEP_2)
	v_add_nc_u32_e32 v4, v4, v5
	v_mul_lo_u32 v5, s2, v0
	v_add_nc_u32_e32 v4, v4, v6
	s_delay_alu instid0(VALU_DEP_2) | instskip(NEXT) | instid1(VALU_DEP_2)
	v_mul_hi_u32 v6, v0, v5
	v_mul_lo_u32 v7, v0, v4
	v_mul_hi_u32 v8, v0, v4
	v_mul_hi_u32 v9, v1, v5
	v_mul_lo_u32 v5, v1, v5
	v_mul_hi_u32 v10, v1, v4
	v_mul_lo_u32 v4, v1, v4
	v_add_co_u32 v6, vcc_lo, v6, v7
	v_add_co_ci_u32_e32 v7, vcc_lo, 0, v8, vcc_lo
	s_delay_alu instid0(VALU_DEP_2) | instskip(NEXT) | instid1(VALU_DEP_2)
	v_add_co_u32 v5, vcc_lo, v6, v5
	v_add_co_ci_u32_e32 v5, vcc_lo, v7, v9, vcc_lo
	v_add_co_ci_u32_e32 v6, vcc_lo, 0, v10, vcc_lo
	s_delay_alu instid0(VALU_DEP_2) | instskip(NEXT) | instid1(VALU_DEP_2)
	v_add_co_u32 v4, vcc_lo, v5, v4
	v_add_co_ci_u32_e32 v5, vcc_lo, 0, v6, vcc_lo
	s_delay_alu instid0(VALU_DEP_2) | instskip(NEXT) | instid1(VALU_DEP_2)
	v_add_co_u32 v6, vcc_lo, v0, v4
	v_add_co_ci_u32_e32 v8, vcc_lo, v1, v5, vcc_lo
	s_delay_alu instid0(VALU_DEP_2) | instskip(SKIP_1) | instid1(VALU_DEP_3)
	v_mul_hi_u32 v9, v2, v6
	v_mad_u64_u32 v[4:5], null, v3, v6, 0
	v_mad_u64_u32 v[0:1], null, v2, v8, 0
	;; [unrolled: 1-line block ×3, first 2 shown]
	s_delay_alu instid0(VALU_DEP_2) | instskip(NEXT) | instid1(VALU_DEP_3)
	v_add_co_u32 v0, vcc_lo, v9, v0
	v_add_co_ci_u32_e32 v1, vcc_lo, 0, v1, vcc_lo
	s_delay_alu instid0(VALU_DEP_2) | instskip(NEXT) | instid1(VALU_DEP_2)
	v_add_co_u32 v0, vcc_lo, v0, v4
	v_add_co_ci_u32_e32 v0, vcc_lo, v1, v5, vcc_lo
	v_add_co_ci_u32_e32 v1, vcc_lo, 0, v7, vcc_lo
	s_delay_alu instid0(VALU_DEP_2) | instskip(NEXT) | instid1(VALU_DEP_2)
	v_add_co_u32 v4, vcc_lo, v0, v6
	v_add_co_ci_u32_e32 v5, vcc_lo, 0, v1, vcc_lo
	s_delay_alu instid0(VALU_DEP_2) | instskip(SKIP_1) | instid1(VALU_DEP_3)
	v_mul_lo_u32 v6, s5, v4
	v_mad_u64_u32 v[0:1], null, s4, v4, 0
	v_mul_lo_u32 v4, s4, v5
	s_delay_alu instid0(VALU_DEP_2) | instskip(NEXT) | instid1(VALU_DEP_2)
	v_sub_co_u32 v0, vcc_lo, v2, v0
	v_add3_u32 v1, v1, v4, v6
	s_delay_alu instid0(VALU_DEP_1) | instskip(NEXT) | instid1(VALU_DEP_1)
	v_sub_nc_u32_e32 v4, v3, v1
	v_subrev_co_ci_u32_e64 v2, s2, s5, v4, vcc_lo
	v_sub_co_ci_u32_e32 v1, vcc_lo, v3, v1, vcc_lo
	v_sub_co_u32 v3, vcc_lo, v0, s4
	s_delay_alu instid0(VALU_DEP_1) | instskip(SKIP_3) | instid1(VALU_DEP_3)
	v_subrev_co_ci_u32_e64 v4, s2, 0, v2, vcc_lo
	v_cmp_le_u32_e64 s2, s4, v0
	v_subrev_co_ci_u32_e32 v2, vcc_lo, s5, v2, vcc_lo
	v_cmp_le_u32_e32 vcc_lo, s5, v1
	v_cndmask_b32_e64 v5, 0, -1, s2
	v_cmp_le_u32_e64 s2, s4, v3
	v_cndmask_b32_e64 v8, 0, -1, vcc_lo
	v_cmp_eq_u32_e32 vcc_lo, s5, v4
	s_delay_alu instid0(VALU_DEP_3) | instskip(SKIP_1) | instid1(VALU_DEP_1)
	v_cndmask_b32_e64 v6, 0, -1, s2
	v_cmp_le_u32_e64 s2, s5, v4
	v_cndmask_b32_e64 v7, 0, -1, s2
	v_cmp_eq_u32_e64 s2, s5, v1
	s_delay_alu instid0(VALU_DEP_2) | instskip(SKIP_2) | instid1(VALU_DEP_3)
	v_cndmask_b32_e32 v6, v7, v6, vcc_lo
	v_sub_co_u32 v7, vcc_lo, v3, s4
	v_subrev_co_ci_u32_e32 v2, vcc_lo, 0, v2, vcc_lo
	v_cmp_ne_u32_e32 vcc_lo, 0, v6
	v_cndmask_b32_e64 v5, v8, v5, s2
	s_delay_alu instid0(VALU_DEP_3) | instskip(NEXT) | instid1(VALU_DEP_2)
	v_dual_cndmask_b32 v2, v4, v2 :: v_dual_cndmask_b32 v3, v3, v7
	v_cmp_ne_u32_e32 vcc_lo, 0, v5
	s_delay_alu instid0(VALU_DEP_2)
	v_dual_cndmask_b32 v1, v1, v2 :: v_dual_cndmask_b32 v0, v0, v3
                                        ; implicit-def: $vgpr2_vgpr3
.LBB24_3:
	s_and_not1_saveexec_b32 s2, s3
	s_cbranch_execz .LBB24_5
; %bb.4:
	v_cvt_f32_u32_e32 v0, s4
	s_sub_i32 s3, 0, s4
	s_delay_alu instid0(VALU_DEP_1) | instskip(SKIP_2) | instid1(VALU_DEP_1)
	v_rcp_iflag_f32_e32 v0, v0
	s_waitcnt_depctr 0xfff
	v_mul_f32_e32 v0, 0x4f7ffffe, v0
	v_cvt_u32_f32_e32 v0, v0
	s_delay_alu instid0(VALU_DEP_1) | instskip(NEXT) | instid1(VALU_DEP_1)
	v_mul_lo_u32 v1, s3, v0
	v_mul_hi_u32 v1, v0, v1
	s_delay_alu instid0(VALU_DEP_1) | instskip(NEXT) | instid1(VALU_DEP_1)
	v_add_nc_u32_e32 v0, v0, v1
	v_mul_hi_u32 v0, v2, v0
	s_delay_alu instid0(VALU_DEP_1) | instskip(NEXT) | instid1(VALU_DEP_1)
	v_mul_lo_u32 v0, v0, s4
	v_sub_nc_u32_e32 v0, v2, v0
	s_delay_alu instid0(VALU_DEP_1) | instskip(SKIP_1) | instid1(VALU_DEP_2)
	v_subrev_nc_u32_e32 v1, s4, v0
	v_cmp_le_u32_e32 vcc_lo, s4, v0
	v_cndmask_b32_e32 v0, v0, v1, vcc_lo
	s_delay_alu instid0(VALU_DEP_1) | instskip(SKIP_1) | instid1(VALU_DEP_2)
	v_subrev_nc_u32_e32 v1, s4, v0
	v_cmp_le_u32_e32 vcc_lo, s4, v0
	v_dual_cndmask_b32 v0, v0, v1 :: v_dual_mov_b32 v1, 0
.LBB24_5:
	s_or_b32 exec_lo, exec_lo, s2
	s_clause 0x5
	s_load_b128 s[16:19], s[0:1], 0x70
	s_load_b256 s[4:11], s[0:1], 0x18
	s_load_b64 s[2:3], s[0:1], 0x68
	s_load_b128 s[20:23], s[0:1], 0x58
	s_load_b64 s[12:13], s[0:1], 0x38
	s_load_b64 s[0:1], s[0:1], 0x0
	s_waitcnt lgkmcnt(0)
	s_add_i32 s15, s15, s18
	s_add_i32 s4, s16, s4
	s_sub_i32 s5, 0, s16
	s_add_i32 s18, s4, -1
	v_mul_lo_u32 v3, s3, v0
	v_mul_lo_u32 v4, s2, v1
	v_mad_u64_u32 v[1:2], null, s2, v0, 0
	v_maxmin_i32 v0, s16, v0, s18
	s_add_i32 s14, s14, s17
	s_max_i32 s17, s16, 0
	s_max_i32 s5, s5, 0
	s_mul_i32 s3, s21, s15
	s_sub_i32 s16, s5, s17
	s_mul_hi_u32 s19, s20, s15
	v_add_nc_u32_e32 v0, s16, v0
	s_mul_i32 s2, s20, s15
	s_add_i32 s3, s19, s3
	s_mul_i32 s20, s23, s14
	s_lshl_b64 s[2:3], s[2:3], 2
	v_ashrrev_i32_e32 v5, 31, v0
	s_mul_hi_u32 s21, s22, s14
	s_add_u32 s12, s12, s2
	s_mul_i32 s4, s22, s14
	s_addc_u32 s13, s13, s3
	s_add_i32 s5, s21, s20
	v_add3_u32 v2, v2, v4, v3
	v_mul_lo_u32 v5, s10, v5
	v_mul_lo_u32 v6, s11, v0
	v_mad_u64_u32 v[3:4], null, s10, v0, 0
	s_lshl_b64 s[2:3], s[4:5], 2
	s_mul_i32 s4, s7, s15
	s_add_u32 s5, s12, s2
	s_mul_hi_u32 s2, s6, s15
	s_addc_u32 s7, s13, s3
	s_add_i32 s3, s2, s4
	s_mul_i32 s2, s6, s15
	v_add3_u32 v4, v4, v5, v6
	s_lshl_b64 s[2:3], s[2:3], 2
	v_lshlrev_b64 v[0:1], 2, v[1:2]
	s_add_u32 s2, s0, s2
	s_addc_u32 s3, s1, s3
	s_mul_i32 s0, s9, s14
	s_mul_hi_u32 s1, s8, s14
	v_lshlrev_b64 v[2:3], 2, v[3:4]
	s_add_i32 s1, s1, s0
	s_mul_i32 s0, s8, s14
	v_add_co_u32 v4, vcc_lo, s5, v0
	s_lshl_b64 s[0:1], s[0:1], 2
	v_add_co_ci_u32_e32 v5, vcc_lo, s7, v1, vcc_lo
	s_add_u32 s0, s2, s0
	s_addc_u32 s1, s3, s1
	v_add_co_u32 v0, vcc_lo, s0, v2
	v_add_co_ci_u32_e32 v1, vcc_lo, s1, v3, vcc_lo
	global_load_b32 v4, v[4:5], off
	global_load_b32 v3, v[0:1], off
	s_mov_b32 s0, 0
.LBB24_6:                               ; =>This Inner Loop Header: Depth=1
	s_waitcnt vmcnt(0)
	v_add_f32_e32 v2, v3, v4
	global_atomic_cmpswap_b32 v2, v[0:1], v[2:3], off glc
	s_waitcnt vmcnt(0)
	v_cmp_eq_u32_e32 vcc_lo, v2, v3
	v_mov_b32_e32 v3, v2
	s_or_b32 s0, vcc_lo, s0
	s_delay_alu instid0(SALU_CYCLE_1)
	s_and_not1_b32 exec_lo, exec_lo, s0
	s_cbranch_execnz .LBB24_6
.LBB24_7:
	s_endpgm
	.section	.rodata,"a",@progbits
	.p2align	6, 0x0
	.amdhsa_kernel _ZN2at6native12_GLOBAL__N_131replication_pad_backward_kernelIfEEvN5torch10headeronly6detail27GenericPackedTensorAccessorINS5_14TensorAccessorIN3c108ArrayRefIlEET_Lm2ENS4_16DefaultPtrTraitsElEENS_6detail16IndexBoundsCheckILm3ElEESB_Lm3ESC_lEENS6_INS7_ISA_KSB_Lm2ESC_lEESG_SI_Lm3ESC_lEEiii
		.amdhsa_group_segment_fixed_size 0
		.amdhsa_private_segment_fixed_size 0
		.amdhsa_kernarg_size 384
		.amdhsa_user_sgpr_count 13
		.amdhsa_user_sgpr_dispatch_ptr 0
		.amdhsa_user_sgpr_queue_ptr 0
		.amdhsa_user_sgpr_kernarg_segment_ptr 1
		.amdhsa_user_sgpr_dispatch_id 0
		.amdhsa_user_sgpr_private_segment_size 0
		.amdhsa_wavefront_size32 1
		.amdhsa_uses_dynamic_stack 0
		.amdhsa_enable_private_segment 0
		.amdhsa_system_sgpr_workgroup_id_x 1
		.amdhsa_system_sgpr_workgroup_id_y 1
		.amdhsa_system_sgpr_workgroup_id_z 1
		.amdhsa_system_sgpr_workgroup_info 0
		.amdhsa_system_vgpr_workitem_id 0
		.amdhsa_next_free_vgpr 11
		.amdhsa_next_free_sgpr 24
		.amdhsa_reserve_vcc 1
		.amdhsa_float_round_mode_32 0
		.amdhsa_float_round_mode_16_64 0
		.amdhsa_float_denorm_mode_32 3
		.amdhsa_float_denorm_mode_16_64 3
		.amdhsa_dx10_clamp 1
		.amdhsa_ieee_mode 1
		.amdhsa_fp16_overflow 0
		.amdhsa_workgroup_processor_mode 1
		.amdhsa_memory_ordered 1
		.amdhsa_forward_progress 0
		.amdhsa_shared_vgpr_count 0
		.amdhsa_exception_fp_ieee_invalid_op 0
		.amdhsa_exception_fp_denorm_src 0
		.amdhsa_exception_fp_ieee_div_zero 0
		.amdhsa_exception_fp_ieee_overflow 0
		.amdhsa_exception_fp_ieee_underflow 0
		.amdhsa_exception_fp_ieee_inexact 0
		.amdhsa_exception_int_div_zero 0
	.end_amdhsa_kernel
	.section	.text._ZN2at6native12_GLOBAL__N_131replication_pad_backward_kernelIfEEvN5torch10headeronly6detail27GenericPackedTensorAccessorINS5_14TensorAccessorIN3c108ArrayRefIlEET_Lm2ENS4_16DefaultPtrTraitsElEENS_6detail16IndexBoundsCheckILm3ElEESB_Lm3ESC_lEENS6_INS7_ISA_KSB_Lm2ESC_lEESG_SI_Lm3ESC_lEEiii,"axG",@progbits,_ZN2at6native12_GLOBAL__N_131replication_pad_backward_kernelIfEEvN5torch10headeronly6detail27GenericPackedTensorAccessorINS5_14TensorAccessorIN3c108ArrayRefIlEET_Lm2ENS4_16DefaultPtrTraitsElEENS_6detail16IndexBoundsCheckILm3ElEESB_Lm3ESC_lEENS6_INS7_ISA_KSB_Lm2ESC_lEESG_SI_Lm3ESC_lEEiii,comdat
.Lfunc_end24:
	.size	_ZN2at6native12_GLOBAL__N_131replication_pad_backward_kernelIfEEvN5torch10headeronly6detail27GenericPackedTensorAccessorINS5_14TensorAccessorIN3c108ArrayRefIlEET_Lm2ENS4_16DefaultPtrTraitsElEENS_6detail16IndexBoundsCheckILm3ElEESB_Lm3ESC_lEENS6_INS7_ISA_KSB_Lm2ESC_lEESG_SI_Lm3ESC_lEEiii, .Lfunc_end24-_ZN2at6native12_GLOBAL__N_131replication_pad_backward_kernelIfEEvN5torch10headeronly6detail27GenericPackedTensorAccessorINS5_14TensorAccessorIN3c108ArrayRefIlEET_Lm2ENS4_16DefaultPtrTraitsElEENS_6detail16IndexBoundsCheckILm3ElEESB_Lm3ESC_lEENS6_INS7_ISA_KSB_Lm2ESC_lEESG_SI_Lm3ESC_lEEiii
                                        ; -- End function
	.section	.AMDGPU.csdata,"",@progbits
; Kernel info:
; codeLenInByte = 1360
; NumSgprs: 26
; NumVgprs: 11
; ScratchSize: 0
; MemoryBound: 0
; FloatMode: 240
; IeeeMode: 1
; LDSByteSize: 0 bytes/workgroup (compile time only)
; SGPRBlocks: 3
; VGPRBlocks: 1
; NumSGPRsForWavesPerEU: 26
; NumVGPRsForWavesPerEU: 11
; Occupancy: 16
; WaveLimiterHint : 1
; COMPUTE_PGM_RSRC2:SCRATCH_EN: 0
; COMPUTE_PGM_RSRC2:USER_SGPR: 13
; COMPUTE_PGM_RSRC2:TRAP_HANDLER: 0
; COMPUTE_PGM_RSRC2:TGID_X_EN: 1
; COMPUTE_PGM_RSRC2:TGID_Y_EN: 1
; COMPUTE_PGM_RSRC2:TGID_Z_EN: 1
; COMPUTE_PGM_RSRC2:TIDIG_COMP_CNT: 0
	.section	.text._ZN2at6native12_GLOBAL__N_131replication_pad_backward_kernelIN3c107complexIdEEEEvN5torch10headeronly6detail27GenericPackedTensorAccessorINS8_14TensorAccessorINS3_8ArrayRefIlEET_Lm2ENS7_16DefaultPtrTraitsElEENS_6detail16IndexBoundsCheckILm3ElEESD_Lm3ESE_lEENS9_INSA_ISC_KSD_Lm2ESE_lEESI_SK_Lm3ESE_lEEiii,"axG",@progbits,_ZN2at6native12_GLOBAL__N_131replication_pad_backward_kernelIN3c107complexIdEEEEvN5torch10headeronly6detail27GenericPackedTensorAccessorINS8_14TensorAccessorINS3_8ArrayRefIlEET_Lm2ENS7_16DefaultPtrTraitsElEENS_6detail16IndexBoundsCheckILm3ElEESD_Lm3ESE_lEENS9_INSA_ISC_KSD_Lm2ESE_lEESI_SK_Lm3ESE_lEEiii,comdat
	.globl	_ZN2at6native12_GLOBAL__N_131replication_pad_backward_kernelIN3c107complexIdEEEEvN5torch10headeronly6detail27GenericPackedTensorAccessorINS8_14TensorAccessorINS3_8ArrayRefIlEET_Lm2ENS7_16DefaultPtrTraitsElEENS_6detail16IndexBoundsCheckILm3ElEESD_Lm3ESE_lEENS9_INSA_ISC_KSD_Lm2ESE_lEESI_SK_Lm3ESE_lEEiii ; -- Begin function _ZN2at6native12_GLOBAL__N_131replication_pad_backward_kernelIN3c107complexIdEEEEvN5torch10headeronly6detail27GenericPackedTensorAccessorINS8_14TensorAccessorINS3_8ArrayRefIlEET_Lm2ENS7_16DefaultPtrTraitsElEENS_6detail16IndexBoundsCheckILm3ElEESD_Lm3ESE_lEENS9_INSA_ISC_KSD_Lm2ESE_lEESI_SK_Lm3ESE_lEEiii
	.p2align	8
	.type	_ZN2at6native12_GLOBAL__N_131replication_pad_backward_kernelIN3c107complexIdEEEEvN5torch10headeronly6detail27GenericPackedTensorAccessorINS8_14TensorAccessorINS3_8ArrayRefIlEET_Lm2ENS7_16DefaultPtrTraitsElEENS_6detail16IndexBoundsCheckILm3ElEESD_Lm3ESE_lEENS9_INSA_ISC_KSD_Lm2ESE_lEESI_SK_Lm3ESE_lEEiii,@function
_ZN2at6native12_GLOBAL__N_131replication_pad_backward_kernelIN3c107complexIdEEEEvN5torch10headeronly6detail27GenericPackedTensorAccessorINS8_14TensorAccessorINS3_8ArrayRefIlEET_Lm2ENS7_16DefaultPtrTraitsElEENS_6detail16IndexBoundsCheckILm3ElEESD_Lm3ESE_lEENS9_INSA_ISC_KSD_Lm2ESE_lEESI_SK_Lm3ESE_lEEiii: ; @_ZN2at6native12_GLOBAL__N_131replication_pad_backward_kernelIN3c107complexIdEEEEvN5torch10headeronly6detail27GenericPackedTensorAccessorINS8_14TensorAccessorINS3_8ArrayRefIlEET_Lm2ENS7_16DefaultPtrTraitsElEENS_6detail16IndexBoundsCheckILm3ElEESD_Lm3ESE_lEENS9_INSA_ISC_KSD_Lm2ESE_lEESI_SK_Lm3ESE_lEEiii
; %bb.0:
	s_clause 0x1
	s_load_b32 s2, s[0:1], 0x8c
	s_load_b64 s[4:5], s[0:1], 0x50
	v_mov_b32_e32 v4, 0
	s_delay_alu instid0(VALU_DEP_1)
	v_mov_b32_e32 v1, v4
	s_waitcnt lgkmcnt(0)
	s_and_b32 s2, s2, 0xffff
	s_delay_alu instid0(VALU_DEP_1) | instid1(SALU_CYCLE_1)
	v_mad_u64_u32 v[2:3], null, s2, s13, v[0:1]
	s_mov_b32 s2, exec_lo
	s_delay_alu instid0(VALU_DEP_1)
	v_cmpx_gt_i64_e64 s[4:5], v[2:3]
	s_cbranch_execz .LBB25_9
; %bb.1:
	v_or_b32_e32 v5, s5, v3
                                        ; implicit-def: $vgpr0_vgpr1
	s_mov_b32 s2, exec_lo
	s_delay_alu instid0(VALU_DEP_1)
	v_cmpx_ne_u64_e32 0, v[4:5]
	s_xor_b32 s3, exec_lo, s2
	s_cbranch_execz .LBB25_3
; %bb.2:
	v_cvt_f32_u32_e32 v0, s4
	v_cvt_f32_u32_e32 v1, s5
	s_sub_u32 s2, 0, s4
	s_subb_u32 s6, 0, s5
	s_delay_alu instid0(VALU_DEP_1) | instskip(NEXT) | instid1(VALU_DEP_1)
	v_fmamk_f32 v0, v1, 0x4f800000, v0
	v_rcp_f32_e32 v0, v0
	s_waitcnt_depctr 0xfff
	v_mul_f32_e32 v0, 0x5f7ffffc, v0
	s_delay_alu instid0(VALU_DEP_1) | instskip(NEXT) | instid1(VALU_DEP_1)
	v_mul_f32_e32 v1, 0x2f800000, v0
	v_trunc_f32_e32 v1, v1
	s_delay_alu instid0(VALU_DEP_1) | instskip(SKIP_1) | instid1(VALU_DEP_2)
	v_fmamk_f32 v0, v1, 0xcf800000, v0
	v_cvt_u32_f32_e32 v1, v1
	v_cvt_u32_f32_e32 v0, v0
	s_delay_alu instid0(VALU_DEP_2) | instskip(NEXT) | instid1(VALU_DEP_2)
	v_mul_lo_u32 v4, s2, v1
	v_mul_hi_u32 v5, s2, v0
	v_mul_lo_u32 v6, s6, v0
	s_delay_alu instid0(VALU_DEP_2) | instskip(SKIP_1) | instid1(VALU_DEP_2)
	v_add_nc_u32_e32 v4, v5, v4
	v_mul_lo_u32 v5, s2, v0
	v_add_nc_u32_e32 v4, v4, v6
	s_delay_alu instid0(VALU_DEP_2) | instskip(NEXT) | instid1(VALU_DEP_2)
	v_mul_hi_u32 v6, v0, v5
	v_mul_lo_u32 v7, v0, v4
	v_mul_hi_u32 v8, v0, v4
	v_mul_hi_u32 v9, v1, v5
	v_mul_lo_u32 v5, v1, v5
	v_mul_hi_u32 v10, v1, v4
	v_mul_lo_u32 v4, v1, v4
	v_add_co_u32 v6, vcc_lo, v6, v7
	v_add_co_ci_u32_e32 v7, vcc_lo, 0, v8, vcc_lo
	s_delay_alu instid0(VALU_DEP_2) | instskip(NEXT) | instid1(VALU_DEP_2)
	v_add_co_u32 v5, vcc_lo, v6, v5
	v_add_co_ci_u32_e32 v5, vcc_lo, v7, v9, vcc_lo
	v_add_co_ci_u32_e32 v6, vcc_lo, 0, v10, vcc_lo
	s_delay_alu instid0(VALU_DEP_2) | instskip(NEXT) | instid1(VALU_DEP_2)
	v_add_co_u32 v4, vcc_lo, v5, v4
	v_add_co_ci_u32_e32 v5, vcc_lo, 0, v6, vcc_lo
	s_delay_alu instid0(VALU_DEP_2) | instskip(NEXT) | instid1(VALU_DEP_2)
	v_add_co_u32 v0, vcc_lo, v0, v4
	v_add_co_ci_u32_e32 v1, vcc_lo, v1, v5, vcc_lo
	s_delay_alu instid0(VALU_DEP_2) | instskip(SKIP_1) | instid1(VALU_DEP_3)
	v_mul_hi_u32 v4, s2, v0
	v_mul_lo_u32 v6, s6, v0
	v_mul_lo_u32 v5, s2, v1
	s_delay_alu instid0(VALU_DEP_1) | instskip(SKIP_1) | instid1(VALU_DEP_2)
	v_add_nc_u32_e32 v4, v4, v5
	v_mul_lo_u32 v5, s2, v0
	v_add_nc_u32_e32 v4, v4, v6
	s_delay_alu instid0(VALU_DEP_2) | instskip(NEXT) | instid1(VALU_DEP_2)
	v_mul_hi_u32 v6, v0, v5
	v_mul_lo_u32 v7, v0, v4
	v_mul_hi_u32 v8, v0, v4
	v_mul_hi_u32 v9, v1, v5
	v_mul_lo_u32 v5, v1, v5
	v_mul_hi_u32 v10, v1, v4
	v_mul_lo_u32 v4, v1, v4
	v_add_co_u32 v6, vcc_lo, v6, v7
	v_add_co_ci_u32_e32 v7, vcc_lo, 0, v8, vcc_lo
	s_delay_alu instid0(VALU_DEP_2) | instskip(NEXT) | instid1(VALU_DEP_2)
	v_add_co_u32 v5, vcc_lo, v6, v5
	v_add_co_ci_u32_e32 v5, vcc_lo, v7, v9, vcc_lo
	v_add_co_ci_u32_e32 v6, vcc_lo, 0, v10, vcc_lo
	s_delay_alu instid0(VALU_DEP_2) | instskip(NEXT) | instid1(VALU_DEP_2)
	v_add_co_u32 v4, vcc_lo, v5, v4
	v_add_co_ci_u32_e32 v5, vcc_lo, 0, v6, vcc_lo
	s_delay_alu instid0(VALU_DEP_2) | instskip(NEXT) | instid1(VALU_DEP_2)
	v_add_co_u32 v6, vcc_lo, v0, v4
	v_add_co_ci_u32_e32 v8, vcc_lo, v1, v5, vcc_lo
	s_delay_alu instid0(VALU_DEP_2) | instskip(SKIP_1) | instid1(VALU_DEP_3)
	v_mul_hi_u32 v9, v2, v6
	v_mad_u64_u32 v[4:5], null, v3, v6, 0
	v_mad_u64_u32 v[0:1], null, v2, v8, 0
	;; [unrolled: 1-line block ×3, first 2 shown]
	s_delay_alu instid0(VALU_DEP_2) | instskip(NEXT) | instid1(VALU_DEP_3)
	v_add_co_u32 v0, vcc_lo, v9, v0
	v_add_co_ci_u32_e32 v1, vcc_lo, 0, v1, vcc_lo
	s_delay_alu instid0(VALU_DEP_2) | instskip(NEXT) | instid1(VALU_DEP_2)
	v_add_co_u32 v0, vcc_lo, v0, v4
	v_add_co_ci_u32_e32 v0, vcc_lo, v1, v5, vcc_lo
	v_add_co_ci_u32_e32 v1, vcc_lo, 0, v7, vcc_lo
	s_delay_alu instid0(VALU_DEP_2) | instskip(NEXT) | instid1(VALU_DEP_2)
	v_add_co_u32 v4, vcc_lo, v0, v6
	v_add_co_ci_u32_e32 v5, vcc_lo, 0, v1, vcc_lo
	s_delay_alu instid0(VALU_DEP_2) | instskip(SKIP_1) | instid1(VALU_DEP_3)
	v_mul_lo_u32 v6, s5, v4
	v_mad_u64_u32 v[0:1], null, s4, v4, 0
	v_mul_lo_u32 v4, s4, v5
	s_delay_alu instid0(VALU_DEP_2) | instskip(NEXT) | instid1(VALU_DEP_2)
	v_sub_co_u32 v0, vcc_lo, v2, v0
	v_add3_u32 v1, v1, v4, v6
	s_delay_alu instid0(VALU_DEP_1) | instskip(NEXT) | instid1(VALU_DEP_1)
	v_sub_nc_u32_e32 v4, v3, v1
	v_subrev_co_ci_u32_e64 v2, s2, s5, v4, vcc_lo
	v_sub_co_ci_u32_e32 v1, vcc_lo, v3, v1, vcc_lo
	v_sub_co_u32 v3, vcc_lo, v0, s4
	s_delay_alu instid0(VALU_DEP_1) | instskip(SKIP_3) | instid1(VALU_DEP_3)
	v_subrev_co_ci_u32_e64 v4, s2, 0, v2, vcc_lo
	v_cmp_le_u32_e64 s2, s4, v0
	v_subrev_co_ci_u32_e32 v2, vcc_lo, s5, v2, vcc_lo
	v_cmp_le_u32_e32 vcc_lo, s5, v1
	v_cndmask_b32_e64 v5, 0, -1, s2
	v_cmp_le_u32_e64 s2, s4, v3
	v_cndmask_b32_e64 v8, 0, -1, vcc_lo
	v_cmp_eq_u32_e32 vcc_lo, s5, v4
	s_delay_alu instid0(VALU_DEP_3) | instskip(SKIP_1) | instid1(VALU_DEP_1)
	v_cndmask_b32_e64 v6, 0, -1, s2
	v_cmp_le_u32_e64 s2, s5, v4
	v_cndmask_b32_e64 v7, 0, -1, s2
	v_cmp_eq_u32_e64 s2, s5, v1
	s_delay_alu instid0(VALU_DEP_2) | instskip(SKIP_2) | instid1(VALU_DEP_3)
	v_cndmask_b32_e32 v6, v7, v6, vcc_lo
	v_sub_co_u32 v7, vcc_lo, v3, s4
	v_subrev_co_ci_u32_e32 v2, vcc_lo, 0, v2, vcc_lo
	v_cmp_ne_u32_e32 vcc_lo, 0, v6
	v_cndmask_b32_e64 v5, v8, v5, s2
	s_delay_alu instid0(VALU_DEP_3) | instskip(NEXT) | instid1(VALU_DEP_2)
	v_dual_cndmask_b32 v2, v4, v2 :: v_dual_cndmask_b32 v3, v3, v7
	v_cmp_ne_u32_e32 vcc_lo, 0, v5
	s_delay_alu instid0(VALU_DEP_2)
	v_dual_cndmask_b32 v1, v1, v2 :: v_dual_cndmask_b32 v0, v0, v3
                                        ; implicit-def: $vgpr2_vgpr3
.LBB25_3:
	s_and_not1_saveexec_b32 s2, s3
	s_cbranch_execz .LBB25_5
; %bb.4:
	v_cvt_f32_u32_e32 v0, s4
	s_sub_i32 s3, 0, s4
	s_delay_alu instid0(VALU_DEP_1) | instskip(SKIP_2) | instid1(VALU_DEP_1)
	v_rcp_iflag_f32_e32 v0, v0
	s_waitcnt_depctr 0xfff
	v_mul_f32_e32 v0, 0x4f7ffffe, v0
	v_cvt_u32_f32_e32 v0, v0
	s_delay_alu instid0(VALU_DEP_1) | instskip(NEXT) | instid1(VALU_DEP_1)
	v_mul_lo_u32 v1, s3, v0
	v_mul_hi_u32 v1, v0, v1
	s_delay_alu instid0(VALU_DEP_1) | instskip(NEXT) | instid1(VALU_DEP_1)
	v_add_nc_u32_e32 v0, v0, v1
	v_mul_hi_u32 v0, v2, v0
	s_delay_alu instid0(VALU_DEP_1) | instskip(NEXT) | instid1(VALU_DEP_1)
	v_mul_lo_u32 v0, v0, s4
	v_sub_nc_u32_e32 v0, v2, v0
	s_delay_alu instid0(VALU_DEP_1) | instskip(SKIP_1) | instid1(VALU_DEP_2)
	v_subrev_nc_u32_e32 v1, s4, v0
	v_cmp_le_u32_e32 vcc_lo, s4, v0
	v_cndmask_b32_e32 v0, v0, v1, vcc_lo
	s_delay_alu instid0(VALU_DEP_1) | instskip(SKIP_1) | instid1(VALU_DEP_2)
	v_subrev_nc_u32_e32 v1, s4, v0
	v_cmp_le_u32_e32 vcc_lo, s4, v0
	v_dual_cndmask_b32 v0, v0, v1 :: v_dual_mov_b32 v1, 0
.LBB25_5:
	s_or_b32 exec_lo, exec_lo, s2
	s_clause 0x5
	s_load_b128 s[16:19], s[0:1], 0x70
	s_load_b256 s[4:11], s[0:1], 0x18
	s_load_b64 s[2:3], s[0:1], 0x68
	s_load_b128 s[20:23], s[0:1], 0x58
	s_load_b64 s[12:13], s[0:1], 0x38
	s_load_b64 s[0:1], s[0:1], 0x0
	s_waitcnt lgkmcnt(0)
	s_add_i32 s15, s15, s18
	s_add_i32 s4, s16, s4
	s_sub_i32 s5, 0, s16
	s_add_i32 s18, s4, -1
	v_mul_lo_u32 v3, s3, v0
	v_mul_lo_u32 v4, s2, v1
	v_mad_u64_u32 v[1:2], null, s2, v0, 0
	v_maxmin_i32 v0, s16, v0, s18
	s_add_i32 s14, s14, s17
	s_max_i32 s17, s16, 0
	s_max_i32 s5, s5, 0
	s_mul_i32 s3, s21, s15
	s_sub_i32 s16, s5, s17
	s_mul_hi_u32 s19, s20, s15
	v_add_nc_u32_e32 v0, s16, v0
	s_mul_i32 s2, s20, s15
	s_add_i32 s3, s19, s3
	s_mul_i32 s20, s23, s14
	s_lshl_b64 s[2:3], s[2:3], 4
	v_ashrrev_i32_e32 v5, 31, v0
	s_mul_hi_u32 s21, s22, s14
	s_add_u32 s12, s12, s2
	s_mul_i32 s4, s22, s14
	s_addc_u32 s13, s13, s3
	s_add_i32 s5, s21, s20
	v_add3_u32 v2, v2, v4, v3
	v_mul_lo_u32 v5, s10, v5
	v_mul_lo_u32 v6, s11, v0
	v_mad_u64_u32 v[3:4], null, s10, v0, 0
	s_lshl_b64 s[2:3], s[4:5], 4
	s_mul_i32 s4, s7, s15
	s_add_u32 s5, s12, s2
	s_mul_hi_u32 s2, s6, s15
	s_addc_u32 s7, s13, s3
	s_add_i32 s3, s2, s4
	s_mul_i32 s2, s6, s15
	v_add3_u32 v4, v4, v5, v6
	s_lshl_b64 s[2:3], s[2:3], 4
	v_lshlrev_b64 v[0:1], 4, v[1:2]
	s_add_u32 s2, s0, s2
	s_addc_u32 s3, s1, s3
	s_mul_i32 s0, s9, s14
	s_mul_hi_u32 s1, s8, s14
	v_lshlrev_b64 v[2:3], 4, v[3:4]
	s_add_i32 s1, s1, s0
	s_mul_i32 s0, s8, s14
	v_add_co_u32 v0, vcc_lo, s5, v0
	s_lshl_b64 s[0:1], s[0:1], 4
	v_add_co_ci_u32_e32 v1, vcc_lo, s7, v1, vcc_lo
	s_add_u32 s0, s2, s0
	s_addc_u32 s1, s3, s1
	v_add_co_u32 v8, vcc_lo, s0, v2
	v_add_co_ci_u32_e32 v9, vcc_lo, s1, v3, vcc_lo
	global_load_b128 v[0:3], v[0:1], off
	global_load_b64 v[6:7], v[8:9], off
	s_mov_b32 s0, 0
.LBB25_6:                               ; =>This Inner Loop Header: Depth=1
	s_waitcnt vmcnt(0)
	v_add_f64 v[4:5], v[6:7], v[0:1]
	global_atomic_cmpswap_b64 v[4:5], v[8:9], v[4:7], off glc
	s_waitcnt vmcnt(0)
	v_cmp_eq_u64_e32 vcc_lo, v[4:5], v[6:7]
	v_dual_mov_b32 v7, v5 :: v_dual_mov_b32 v6, v4
	s_or_b32 s0, vcc_lo, s0
	s_delay_alu instid0(SALU_CYCLE_1)
	s_and_not1_b32 exec_lo, exec_lo, s0
	s_cbranch_execnz .LBB25_6
; %bb.7:
	s_or_b32 exec_lo, exec_lo, s0
	global_load_b64 v[6:7], v[8:9], off offset:8
	s_mov_b32 s0, 0
.LBB25_8:                               ; =>This Inner Loop Header: Depth=1
	s_waitcnt vmcnt(0)
	v_add_f64 v[4:5], v[6:7], v[2:3]
	global_atomic_cmpswap_b64 v[0:1], v[8:9], v[4:7], off offset:8 glc
	s_waitcnt vmcnt(0)
	v_cmp_eq_u64_e32 vcc_lo, v[0:1], v[6:7]
	v_dual_mov_b32 v7, v1 :: v_dual_mov_b32 v6, v0
	s_or_b32 s0, vcc_lo, s0
	s_delay_alu instid0(SALU_CYCLE_1)
	s_and_not1_b32 exec_lo, exec_lo, s0
	s_cbranch_execnz .LBB25_8
.LBB25_9:
	s_endpgm
	.section	.rodata,"a",@progbits
	.p2align	6, 0x0
	.amdhsa_kernel _ZN2at6native12_GLOBAL__N_131replication_pad_backward_kernelIN3c107complexIdEEEEvN5torch10headeronly6detail27GenericPackedTensorAccessorINS8_14TensorAccessorINS3_8ArrayRefIlEET_Lm2ENS7_16DefaultPtrTraitsElEENS_6detail16IndexBoundsCheckILm3ElEESD_Lm3ESE_lEENS9_INSA_ISC_KSD_Lm2ESE_lEESI_SK_Lm3ESE_lEEiii
		.amdhsa_group_segment_fixed_size 0
		.amdhsa_private_segment_fixed_size 0
		.amdhsa_kernarg_size 384
		.amdhsa_user_sgpr_count 13
		.amdhsa_user_sgpr_dispatch_ptr 0
		.amdhsa_user_sgpr_queue_ptr 0
		.amdhsa_user_sgpr_kernarg_segment_ptr 1
		.amdhsa_user_sgpr_dispatch_id 0
		.amdhsa_user_sgpr_private_segment_size 0
		.amdhsa_wavefront_size32 1
		.amdhsa_uses_dynamic_stack 0
		.amdhsa_enable_private_segment 0
		.amdhsa_system_sgpr_workgroup_id_x 1
		.amdhsa_system_sgpr_workgroup_id_y 1
		.amdhsa_system_sgpr_workgroup_id_z 1
		.amdhsa_system_sgpr_workgroup_info 0
		.amdhsa_system_vgpr_workitem_id 0
		.amdhsa_next_free_vgpr 11
		.amdhsa_next_free_sgpr 24
		.amdhsa_reserve_vcc 1
		.amdhsa_float_round_mode_32 0
		.amdhsa_float_round_mode_16_64 0
		.amdhsa_float_denorm_mode_32 3
		.amdhsa_float_denorm_mode_16_64 3
		.amdhsa_dx10_clamp 1
		.amdhsa_ieee_mode 1
		.amdhsa_fp16_overflow 0
		.amdhsa_workgroup_processor_mode 1
		.amdhsa_memory_ordered 1
		.amdhsa_forward_progress 0
		.amdhsa_shared_vgpr_count 0
		.amdhsa_exception_fp_ieee_invalid_op 0
		.amdhsa_exception_fp_denorm_src 0
		.amdhsa_exception_fp_ieee_div_zero 0
		.amdhsa_exception_fp_ieee_overflow 0
		.amdhsa_exception_fp_ieee_underflow 0
		.amdhsa_exception_fp_ieee_inexact 0
		.amdhsa_exception_int_div_zero 0
	.end_amdhsa_kernel
	.section	.text._ZN2at6native12_GLOBAL__N_131replication_pad_backward_kernelIN3c107complexIdEEEEvN5torch10headeronly6detail27GenericPackedTensorAccessorINS8_14TensorAccessorINS3_8ArrayRefIlEET_Lm2ENS7_16DefaultPtrTraitsElEENS_6detail16IndexBoundsCheckILm3ElEESD_Lm3ESE_lEENS9_INSA_ISC_KSD_Lm2ESE_lEESI_SK_Lm3ESE_lEEiii,"axG",@progbits,_ZN2at6native12_GLOBAL__N_131replication_pad_backward_kernelIN3c107complexIdEEEEvN5torch10headeronly6detail27GenericPackedTensorAccessorINS8_14TensorAccessorINS3_8ArrayRefIlEET_Lm2ENS7_16DefaultPtrTraitsElEENS_6detail16IndexBoundsCheckILm3ElEESD_Lm3ESE_lEENS9_INSA_ISC_KSD_Lm2ESE_lEESI_SK_Lm3ESE_lEEiii,comdat
.Lfunc_end25:
	.size	_ZN2at6native12_GLOBAL__N_131replication_pad_backward_kernelIN3c107complexIdEEEEvN5torch10headeronly6detail27GenericPackedTensorAccessorINS8_14TensorAccessorINS3_8ArrayRefIlEET_Lm2ENS7_16DefaultPtrTraitsElEENS_6detail16IndexBoundsCheckILm3ElEESD_Lm3ESE_lEENS9_INSA_ISC_KSD_Lm2ESE_lEESI_SK_Lm3ESE_lEEiii, .Lfunc_end25-_ZN2at6native12_GLOBAL__N_131replication_pad_backward_kernelIN3c107complexIdEEEEvN5torch10headeronly6detail27GenericPackedTensorAccessorINS8_14TensorAccessorINS3_8ArrayRefIlEET_Lm2ENS7_16DefaultPtrTraitsElEENS_6detail16IndexBoundsCheckILm3ElEESD_Lm3ESE_lEENS9_INSA_ISC_KSD_Lm2ESE_lEESI_SK_Lm3ESE_lEEiii
                                        ; -- End function
	.section	.AMDGPU.csdata,"",@progbits
; Kernel info:
; codeLenInByte = 1436
; NumSgprs: 26
; NumVgprs: 11
; ScratchSize: 0
; MemoryBound: 0
; FloatMode: 240
; IeeeMode: 1
; LDSByteSize: 0 bytes/workgroup (compile time only)
; SGPRBlocks: 3
; VGPRBlocks: 1
; NumSGPRsForWavesPerEU: 26
; NumVGPRsForWavesPerEU: 11
; Occupancy: 16
; WaveLimiterHint : 1
; COMPUTE_PGM_RSRC2:SCRATCH_EN: 0
; COMPUTE_PGM_RSRC2:USER_SGPR: 13
; COMPUTE_PGM_RSRC2:TRAP_HANDLER: 0
; COMPUTE_PGM_RSRC2:TGID_X_EN: 1
; COMPUTE_PGM_RSRC2:TGID_Y_EN: 1
; COMPUTE_PGM_RSRC2:TGID_Z_EN: 1
; COMPUTE_PGM_RSRC2:TIDIG_COMP_CNT: 0
	.section	.text._ZN2at6native12_GLOBAL__N_131replication_pad_backward_kernelIN3c107complexIfEEEEvN5torch10headeronly6detail27GenericPackedTensorAccessorINS8_14TensorAccessorINS3_8ArrayRefIlEET_Lm2ENS7_16DefaultPtrTraitsElEENS_6detail16IndexBoundsCheckILm3ElEESD_Lm3ESE_lEENS9_INSA_ISC_KSD_Lm2ESE_lEESI_SK_Lm3ESE_lEEiii,"axG",@progbits,_ZN2at6native12_GLOBAL__N_131replication_pad_backward_kernelIN3c107complexIfEEEEvN5torch10headeronly6detail27GenericPackedTensorAccessorINS8_14TensorAccessorINS3_8ArrayRefIlEET_Lm2ENS7_16DefaultPtrTraitsElEENS_6detail16IndexBoundsCheckILm3ElEESD_Lm3ESE_lEENS9_INSA_ISC_KSD_Lm2ESE_lEESI_SK_Lm3ESE_lEEiii,comdat
	.globl	_ZN2at6native12_GLOBAL__N_131replication_pad_backward_kernelIN3c107complexIfEEEEvN5torch10headeronly6detail27GenericPackedTensorAccessorINS8_14TensorAccessorINS3_8ArrayRefIlEET_Lm2ENS7_16DefaultPtrTraitsElEENS_6detail16IndexBoundsCheckILm3ElEESD_Lm3ESE_lEENS9_INSA_ISC_KSD_Lm2ESE_lEESI_SK_Lm3ESE_lEEiii ; -- Begin function _ZN2at6native12_GLOBAL__N_131replication_pad_backward_kernelIN3c107complexIfEEEEvN5torch10headeronly6detail27GenericPackedTensorAccessorINS8_14TensorAccessorINS3_8ArrayRefIlEET_Lm2ENS7_16DefaultPtrTraitsElEENS_6detail16IndexBoundsCheckILm3ElEESD_Lm3ESE_lEENS9_INSA_ISC_KSD_Lm2ESE_lEESI_SK_Lm3ESE_lEEiii
	.p2align	8
	.type	_ZN2at6native12_GLOBAL__N_131replication_pad_backward_kernelIN3c107complexIfEEEEvN5torch10headeronly6detail27GenericPackedTensorAccessorINS8_14TensorAccessorINS3_8ArrayRefIlEET_Lm2ENS7_16DefaultPtrTraitsElEENS_6detail16IndexBoundsCheckILm3ElEESD_Lm3ESE_lEENS9_INSA_ISC_KSD_Lm2ESE_lEESI_SK_Lm3ESE_lEEiii,@function
_ZN2at6native12_GLOBAL__N_131replication_pad_backward_kernelIN3c107complexIfEEEEvN5torch10headeronly6detail27GenericPackedTensorAccessorINS8_14TensorAccessorINS3_8ArrayRefIlEET_Lm2ENS7_16DefaultPtrTraitsElEENS_6detail16IndexBoundsCheckILm3ElEESD_Lm3ESE_lEENS9_INSA_ISC_KSD_Lm2ESE_lEESI_SK_Lm3ESE_lEEiii: ; @_ZN2at6native12_GLOBAL__N_131replication_pad_backward_kernelIN3c107complexIfEEEEvN5torch10headeronly6detail27GenericPackedTensorAccessorINS8_14TensorAccessorINS3_8ArrayRefIlEET_Lm2ENS7_16DefaultPtrTraitsElEENS_6detail16IndexBoundsCheckILm3ElEESD_Lm3ESE_lEENS9_INSA_ISC_KSD_Lm2ESE_lEESI_SK_Lm3ESE_lEEiii
; %bb.0:
	s_clause 0x1
	s_load_b32 s2, s[0:1], 0x8c
	s_load_b64 s[4:5], s[0:1], 0x50
	v_mov_b32_e32 v4, 0
	s_delay_alu instid0(VALU_DEP_1)
	v_mov_b32_e32 v1, v4
	s_waitcnt lgkmcnt(0)
	s_and_b32 s2, s2, 0xffff
	s_delay_alu instid0(VALU_DEP_1) | instid1(SALU_CYCLE_1)
	v_mad_u64_u32 v[2:3], null, s2, s13, v[0:1]
	s_mov_b32 s2, exec_lo
	s_delay_alu instid0(VALU_DEP_1)
	v_cmpx_gt_i64_e64 s[4:5], v[2:3]
	s_cbranch_execz .LBB26_9
; %bb.1:
	v_or_b32_e32 v5, s5, v3
                                        ; implicit-def: $vgpr0_vgpr1
	s_mov_b32 s2, exec_lo
	s_delay_alu instid0(VALU_DEP_1)
	v_cmpx_ne_u64_e32 0, v[4:5]
	s_xor_b32 s3, exec_lo, s2
	s_cbranch_execz .LBB26_3
; %bb.2:
	v_cvt_f32_u32_e32 v0, s4
	v_cvt_f32_u32_e32 v1, s5
	s_sub_u32 s2, 0, s4
	s_subb_u32 s6, 0, s5
	s_delay_alu instid0(VALU_DEP_1) | instskip(NEXT) | instid1(VALU_DEP_1)
	v_fmamk_f32 v0, v1, 0x4f800000, v0
	v_rcp_f32_e32 v0, v0
	s_waitcnt_depctr 0xfff
	v_mul_f32_e32 v0, 0x5f7ffffc, v0
	s_delay_alu instid0(VALU_DEP_1) | instskip(NEXT) | instid1(VALU_DEP_1)
	v_mul_f32_e32 v1, 0x2f800000, v0
	v_trunc_f32_e32 v1, v1
	s_delay_alu instid0(VALU_DEP_1) | instskip(SKIP_1) | instid1(VALU_DEP_2)
	v_fmamk_f32 v0, v1, 0xcf800000, v0
	v_cvt_u32_f32_e32 v1, v1
	v_cvt_u32_f32_e32 v0, v0
	s_delay_alu instid0(VALU_DEP_2) | instskip(NEXT) | instid1(VALU_DEP_2)
	v_mul_lo_u32 v4, s2, v1
	v_mul_hi_u32 v5, s2, v0
	v_mul_lo_u32 v6, s6, v0
	s_delay_alu instid0(VALU_DEP_2) | instskip(SKIP_1) | instid1(VALU_DEP_2)
	v_add_nc_u32_e32 v4, v5, v4
	v_mul_lo_u32 v5, s2, v0
	v_add_nc_u32_e32 v4, v4, v6
	s_delay_alu instid0(VALU_DEP_2) | instskip(NEXT) | instid1(VALU_DEP_2)
	v_mul_hi_u32 v6, v0, v5
	v_mul_lo_u32 v7, v0, v4
	v_mul_hi_u32 v8, v0, v4
	v_mul_hi_u32 v9, v1, v5
	v_mul_lo_u32 v5, v1, v5
	v_mul_hi_u32 v10, v1, v4
	v_mul_lo_u32 v4, v1, v4
	v_add_co_u32 v6, vcc_lo, v6, v7
	v_add_co_ci_u32_e32 v7, vcc_lo, 0, v8, vcc_lo
	s_delay_alu instid0(VALU_DEP_2) | instskip(NEXT) | instid1(VALU_DEP_2)
	v_add_co_u32 v5, vcc_lo, v6, v5
	v_add_co_ci_u32_e32 v5, vcc_lo, v7, v9, vcc_lo
	v_add_co_ci_u32_e32 v6, vcc_lo, 0, v10, vcc_lo
	s_delay_alu instid0(VALU_DEP_2) | instskip(NEXT) | instid1(VALU_DEP_2)
	v_add_co_u32 v4, vcc_lo, v5, v4
	v_add_co_ci_u32_e32 v5, vcc_lo, 0, v6, vcc_lo
	s_delay_alu instid0(VALU_DEP_2) | instskip(NEXT) | instid1(VALU_DEP_2)
	v_add_co_u32 v0, vcc_lo, v0, v4
	v_add_co_ci_u32_e32 v1, vcc_lo, v1, v5, vcc_lo
	s_delay_alu instid0(VALU_DEP_2) | instskip(SKIP_1) | instid1(VALU_DEP_3)
	v_mul_hi_u32 v4, s2, v0
	v_mul_lo_u32 v6, s6, v0
	v_mul_lo_u32 v5, s2, v1
	s_delay_alu instid0(VALU_DEP_1) | instskip(SKIP_1) | instid1(VALU_DEP_2)
	v_add_nc_u32_e32 v4, v4, v5
	v_mul_lo_u32 v5, s2, v0
	v_add_nc_u32_e32 v4, v4, v6
	s_delay_alu instid0(VALU_DEP_2) | instskip(NEXT) | instid1(VALU_DEP_2)
	v_mul_hi_u32 v6, v0, v5
	v_mul_lo_u32 v7, v0, v4
	v_mul_hi_u32 v8, v0, v4
	v_mul_hi_u32 v9, v1, v5
	v_mul_lo_u32 v5, v1, v5
	v_mul_hi_u32 v10, v1, v4
	v_mul_lo_u32 v4, v1, v4
	v_add_co_u32 v6, vcc_lo, v6, v7
	v_add_co_ci_u32_e32 v7, vcc_lo, 0, v8, vcc_lo
	s_delay_alu instid0(VALU_DEP_2) | instskip(NEXT) | instid1(VALU_DEP_2)
	v_add_co_u32 v5, vcc_lo, v6, v5
	v_add_co_ci_u32_e32 v5, vcc_lo, v7, v9, vcc_lo
	v_add_co_ci_u32_e32 v6, vcc_lo, 0, v10, vcc_lo
	s_delay_alu instid0(VALU_DEP_2) | instskip(NEXT) | instid1(VALU_DEP_2)
	v_add_co_u32 v4, vcc_lo, v5, v4
	v_add_co_ci_u32_e32 v5, vcc_lo, 0, v6, vcc_lo
	s_delay_alu instid0(VALU_DEP_2) | instskip(NEXT) | instid1(VALU_DEP_2)
	v_add_co_u32 v6, vcc_lo, v0, v4
	v_add_co_ci_u32_e32 v8, vcc_lo, v1, v5, vcc_lo
	s_delay_alu instid0(VALU_DEP_2) | instskip(SKIP_1) | instid1(VALU_DEP_3)
	v_mul_hi_u32 v9, v2, v6
	v_mad_u64_u32 v[4:5], null, v3, v6, 0
	v_mad_u64_u32 v[0:1], null, v2, v8, 0
	;; [unrolled: 1-line block ×3, first 2 shown]
	s_delay_alu instid0(VALU_DEP_2) | instskip(NEXT) | instid1(VALU_DEP_3)
	v_add_co_u32 v0, vcc_lo, v9, v0
	v_add_co_ci_u32_e32 v1, vcc_lo, 0, v1, vcc_lo
	s_delay_alu instid0(VALU_DEP_2) | instskip(NEXT) | instid1(VALU_DEP_2)
	v_add_co_u32 v0, vcc_lo, v0, v4
	v_add_co_ci_u32_e32 v0, vcc_lo, v1, v5, vcc_lo
	v_add_co_ci_u32_e32 v1, vcc_lo, 0, v7, vcc_lo
	s_delay_alu instid0(VALU_DEP_2) | instskip(NEXT) | instid1(VALU_DEP_2)
	v_add_co_u32 v4, vcc_lo, v0, v6
	v_add_co_ci_u32_e32 v5, vcc_lo, 0, v1, vcc_lo
	s_delay_alu instid0(VALU_DEP_2) | instskip(SKIP_1) | instid1(VALU_DEP_3)
	v_mul_lo_u32 v6, s5, v4
	v_mad_u64_u32 v[0:1], null, s4, v4, 0
	v_mul_lo_u32 v4, s4, v5
	s_delay_alu instid0(VALU_DEP_2) | instskip(NEXT) | instid1(VALU_DEP_2)
	v_sub_co_u32 v0, vcc_lo, v2, v0
	v_add3_u32 v1, v1, v4, v6
	s_delay_alu instid0(VALU_DEP_1) | instskip(NEXT) | instid1(VALU_DEP_1)
	v_sub_nc_u32_e32 v4, v3, v1
	v_subrev_co_ci_u32_e64 v2, s2, s5, v4, vcc_lo
	v_sub_co_ci_u32_e32 v1, vcc_lo, v3, v1, vcc_lo
	v_sub_co_u32 v3, vcc_lo, v0, s4
	s_delay_alu instid0(VALU_DEP_1) | instskip(SKIP_3) | instid1(VALU_DEP_3)
	v_subrev_co_ci_u32_e64 v4, s2, 0, v2, vcc_lo
	v_cmp_le_u32_e64 s2, s4, v0
	v_subrev_co_ci_u32_e32 v2, vcc_lo, s5, v2, vcc_lo
	v_cmp_le_u32_e32 vcc_lo, s5, v1
	v_cndmask_b32_e64 v5, 0, -1, s2
	v_cmp_le_u32_e64 s2, s4, v3
	v_cndmask_b32_e64 v8, 0, -1, vcc_lo
	v_cmp_eq_u32_e32 vcc_lo, s5, v4
	s_delay_alu instid0(VALU_DEP_3) | instskip(SKIP_1) | instid1(VALU_DEP_1)
	v_cndmask_b32_e64 v6, 0, -1, s2
	v_cmp_le_u32_e64 s2, s5, v4
	v_cndmask_b32_e64 v7, 0, -1, s2
	v_cmp_eq_u32_e64 s2, s5, v1
	s_delay_alu instid0(VALU_DEP_2) | instskip(SKIP_2) | instid1(VALU_DEP_3)
	v_cndmask_b32_e32 v6, v7, v6, vcc_lo
	v_sub_co_u32 v7, vcc_lo, v3, s4
	v_subrev_co_ci_u32_e32 v2, vcc_lo, 0, v2, vcc_lo
	v_cmp_ne_u32_e32 vcc_lo, 0, v6
	v_cndmask_b32_e64 v5, v8, v5, s2
	s_delay_alu instid0(VALU_DEP_3) | instskip(NEXT) | instid1(VALU_DEP_2)
	v_dual_cndmask_b32 v2, v4, v2 :: v_dual_cndmask_b32 v3, v3, v7
	v_cmp_ne_u32_e32 vcc_lo, 0, v5
	s_delay_alu instid0(VALU_DEP_2)
	v_dual_cndmask_b32 v1, v1, v2 :: v_dual_cndmask_b32 v0, v0, v3
                                        ; implicit-def: $vgpr2_vgpr3
.LBB26_3:
	s_and_not1_saveexec_b32 s2, s3
	s_cbranch_execz .LBB26_5
; %bb.4:
	v_cvt_f32_u32_e32 v0, s4
	s_sub_i32 s3, 0, s4
	s_delay_alu instid0(VALU_DEP_1) | instskip(SKIP_2) | instid1(VALU_DEP_1)
	v_rcp_iflag_f32_e32 v0, v0
	s_waitcnt_depctr 0xfff
	v_mul_f32_e32 v0, 0x4f7ffffe, v0
	v_cvt_u32_f32_e32 v0, v0
	s_delay_alu instid0(VALU_DEP_1) | instskip(NEXT) | instid1(VALU_DEP_1)
	v_mul_lo_u32 v1, s3, v0
	v_mul_hi_u32 v1, v0, v1
	s_delay_alu instid0(VALU_DEP_1) | instskip(NEXT) | instid1(VALU_DEP_1)
	v_add_nc_u32_e32 v0, v0, v1
	v_mul_hi_u32 v0, v2, v0
	s_delay_alu instid0(VALU_DEP_1) | instskip(NEXT) | instid1(VALU_DEP_1)
	v_mul_lo_u32 v0, v0, s4
	v_sub_nc_u32_e32 v0, v2, v0
	s_delay_alu instid0(VALU_DEP_1) | instskip(SKIP_1) | instid1(VALU_DEP_2)
	v_subrev_nc_u32_e32 v1, s4, v0
	v_cmp_le_u32_e32 vcc_lo, s4, v0
	v_cndmask_b32_e32 v0, v0, v1, vcc_lo
	s_delay_alu instid0(VALU_DEP_1) | instskip(SKIP_1) | instid1(VALU_DEP_2)
	v_subrev_nc_u32_e32 v1, s4, v0
	v_cmp_le_u32_e32 vcc_lo, s4, v0
	v_dual_cndmask_b32 v0, v0, v1 :: v_dual_mov_b32 v1, 0
.LBB26_5:
	s_or_b32 exec_lo, exec_lo, s2
	s_clause 0x5
	s_load_b128 s[16:19], s[0:1], 0x70
	s_load_b256 s[4:11], s[0:1], 0x18
	s_load_b64 s[2:3], s[0:1], 0x68
	s_load_b128 s[20:23], s[0:1], 0x58
	s_load_b64 s[12:13], s[0:1], 0x38
	s_load_b64 s[0:1], s[0:1], 0x0
	s_waitcnt lgkmcnt(0)
	s_add_i32 s15, s15, s18
	s_add_i32 s4, s16, s4
	s_sub_i32 s5, 0, s16
	s_add_i32 s18, s4, -1
	v_mul_lo_u32 v3, s3, v0
	v_mul_lo_u32 v4, s2, v1
	v_mad_u64_u32 v[1:2], null, s2, v0, 0
	v_maxmin_i32 v0, s16, v0, s18
	s_add_i32 s14, s14, s17
	s_max_i32 s17, s16, 0
	s_max_i32 s5, s5, 0
	s_mul_i32 s3, s21, s15
	s_sub_i32 s16, s5, s17
	s_mul_hi_u32 s19, s20, s15
	v_add_nc_u32_e32 v0, s16, v0
	s_mul_i32 s2, s20, s15
	s_add_i32 s3, s19, s3
	s_mul_i32 s20, s23, s14
	s_lshl_b64 s[2:3], s[2:3], 3
	v_ashrrev_i32_e32 v5, 31, v0
	s_mul_hi_u32 s21, s22, s14
	s_add_u32 s12, s12, s2
	s_mul_i32 s4, s22, s14
	s_addc_u32 s13, s13, s3
	s_add_i32 s5, s21, s20
	v_add3_u32 v2, v2, v4, v3
	v_mul_lo_u32 v5, s10, v5
	v_mul_lo_u32 v6, s11, v0
	v_mad_u64_u32 v[3:4], null, s10, v0, 0
	s_lshl_b64 s[2:3], s[4:5], 3
	s_mul_i32 s4, s7, s15
	s_add_u32 s5, s12, s2
	s_mul_hi_u32 s2, s6, s15
	s_addc_u32 s7, s13, s3
	s_add_i32 s3, s2, s4
	s_mul_i32 s2, s6, s15
	v_add3_u32 v4, v4, v5, v6
	s_lshl_b64 s[2:3], s[2:3], 3
	v_lshlrev_b64 v[0:1], 3, v[1:2]
	s_add_u32 s2, s0, s2
	s_addc_u32 s3, s1, s3
	s_mul_i32 s0, s9, s14
	s_mul_hi_u32 s1, s8, s14
	v_lshlrev_b64 v[2:3], 3, v[3:4]
	s_add_i32 s1, s1, s0
	s_mul_i32 s0, s8, s14
	v_add_co_u32 v4, vcc_lo, s5, v0
	s_lshl_b64 s[0:1], s[0:1], 3
	v_add_co_ci_u32_e32 v5, vcc_lo, s7, v1, vcc_lo
	s_add_u32 s0, s2, s0
	s_addc_u32 s1, s3, s1
	v_add_co_u32 v0, vcc_lo, s0, v2
	v_add_co_ci_u32_e32 v1, vcc_lo, s1, v3, vcc_lo
	global_load_b64 v[2:3], v[4:5], off
	global_load_b32 v5, v[0:1], off
	s_mov_b32 s0, 0
.LBB26_6:                               ; =>This Inner Loop Header: Depth=1
	s_waitcnt vmcnt(0)
	v_add_f32_e32 v4, v5, v2
	global_atomic_cmpswap_b32 v4, v[0:1], v[4:5], off glc
	s_waitcnt vmcnt(0)
	v_cmp_eq_u32_e32 vcc_lo, v4, v5
	v_mov_b32_e32 v5, v4
	s_or_b32 s0, vcc_lo, s0
	s_delay_alu instid0(SALU_CYCLE_1)
	s_and_not1_b32 exec_lo, exec_lo, s0
	s_cbranch_execnz .LBB26_6
; %bb.7:
	s_or_b32 exec_lo, exec_lo, s0
	global_load_b32 v5, v[0:1], off offset:4
	s_mov_b32 s0, 0
.LBB26_8:                               ; =>This Inner Loop Header: Depth=1
	s_waitcnt vmcnt(0)
	v_add_f32_e32 v4, v5, v3
	global_atomic_cmpswap_b32 v2, v[0:1], v[4:5], off offset:4 glc
	s_waitcnt vmcnt(0)
	v_cmp_eq_u32_e32 vcc_lo, v2, v5
	v_mov_b32_e32 v5, v2
	s_or_b32 s0, vcc_lo, s0
	s_delay_alu instid0(SALU_CYCLE_1)
	s_and_not1_b32 exec_lo, exec_lo, s0
	s_cbranch_execnz .LBB26_8
.LBB26_9:
	s_endpgm
	.section	.rodata,"a",@progbits
	.p2align	6, 0x0
	.amdhsa_kernel _ZN2at6native12_GLOBAL__N_131replication_pad_backward_kernelIN3c107complexIfEEEEvN5torch10headeronly6detail27GenericPackedTensorAccessorINS8_14TensorAccessorINS3_8ArrayRefIlEET_Lm2ENS7_16DefaultPtrTraitsElEENS_6detail16IndexBoundsCheckILm3ElEESD_Lm3ESE_lEENS9_INSA_ISC_KSD_Lm2ESE_lEESI_SK_Lm3ESE_lEEiii
		.amdhsa_group_segment_fixed_size 0
		.amdhsa_private_segment_fixed_size 0
		.amdhsa_kernarg_size 384
		.amdhsa_user_sgpr_count 13
		.amdhsa_user_sgpr_dispatch_ptr 0
		.amdhsa_user_sgpr_queue_ptr 0
		.amdhsa_user_sgpr_kernarg_segment_ptr 1
		.amdhsa_user_sgpr_dispatch_id 0
		.amdhsa_user_sgpr_private_segment_size 0
		.amdhsa_wavefront_size32 1
		.amdhsa_uses_dynamic_stack 0
		.amdhsa_enable_private_segment 0
		.amdhsa_system_sgpr_workgroup_id_x 1
		.amdhsa_system_sgpr_workgroup_id_y 1
		.amdhsa_system_sgpr_workgroup_id_z 1
		.amdhsa_system_sgpr_workgroup_info 0
		.amdhsa_system_vgpr_workitem_id 0
		.amdhsa_next_free_vgpr 11
		.amdhsa_next_free_sgpr 24
		.amdhsa_reserve_vcc 1
		.amdhsa_float_round_mode_32 0
		.amdhsa_float_round_mode_16_64 0
		.amdhsa_float_denorm_mode_32 3
		.amdhsa_float_denorm_mode_16_64 3
		.amdhsa_dx10_clamp 1
		.amdhsa_ieee_mode 1
		.amdhsa_fp16_overflow 0
		.amdhsa_workgroup_processor_mode 1
		.amdhsa_memory_ordered 1
		.amdhsa_forward_progress 0
		.amdhsa_shared_vgpr_count 0
		.amdhsa_exception_fp_ieee_invalid_op 0
		.amdhsa_exception_fp_denorm_src 0
		.amdhsa_exception_fp_ieee_div_zero 0
		.amdhsa_exception_fp_ieee_overflow 0
		.amdhsa_exception_fp_ieee_underflow 0
		.amdhsa_exception_fp_ieee_inexact 0
		.amdhsa_exception_int_div_zero 0
	.end_amdhsa_kernel
	.section	.text._ZN2at6native12_GLOBAL__N_131replication_pad_backward_kernelIN3c107complexIfEEEEvN5torch10headeronly6detail27GenericPackedTensorAccessorINS8_14TensorAccessorINS3_8ArrayRefIlEET_Lm2ENS7_16DefaultPtrTraitsElEENS_6detail16IndexBoundsCheckILm3ElEESD_Lm3ESE_lEENS9_INSA_ISC_KSD_Lm2ESE_lEESI_SK_Lm3ESE_lEEiii,"axG",@progbits,_ZN2at6native12_GLOBAL__N_131replication_pad_backward_kernelIN3c107complexIfEEEEvN5torch10headeronly6detail27GenericPackedTensorAccessorINS8_14TensorAccessorINS3_8ArrayRefIlEET_Lm2ENS7_16DefaultPtrTraitsElEENS_6detail16IndexBoundsCheckILm3ElEESD_Lm3ESE_lEENS9_INSA_ISC_KSD_Lm2ESE_lEESI_SK_Lm3ESE_lEEiii,comdat
.Lfunc_end26:
	.size	_ZN2at6native12_GLOBAL__N_131replication_pad_backward_kernelIN3c107complexIfEEEEvN5torch10headeronly6detail27GenericPackedTensorAccessorINS8_14TensorAccessorINS3_8ArrayRefIlEET_Lm2ENS7_16DefaultPtrTraitsElEENS_6detail16IndexBoundsCheckILm3ElEESD_Lm3ESE_lEENS9_INSA_ISC_KSD_Lm2ESE_lEESI_SK_Lm3ESE_lEEiii, .Lfunc_end26-_ZN2at6native12_GLOBAL__N_131replication_pad_backward_kernelIN3c107complexIfEEEEvN5torch10headeronly6detail27GenericPackedTensorAccessorINS8_14TensorAccessorINS3_8ArrayRefIlEET_Lm2ENS7_16DefaultPtrTraitsElEENS_6detail16IndexBoundsCheckILm3ElEESD_Lm3ESE_lEENS9_INSA_ISC_KSD_Lm2ESE_lEESI_SK_Lm3ESE_lEEiii
                                        ; -- End function
	.section	.AMDGPU.csdata,"",@progbits
; Kernel info:
; codeLenInByte = 1420
; NumSgprs: 26
; NumVgprs: 11
; ScratchSize: 0
; MemoryBound: 0
; FloatMode: 240
; IeeeMode: 1
; LDSByteSize: 0 bytes/workgroup (compile time only)
; SGPRBlocks: 3
; VGPRBlocks: 1
; NumSGPRsForWavesPerEU: 26
; NumVGPRsForWavesPerEU: 11
; Occupancy: 16
; WaveLimiterHint : 1
; COMPUTE_PGM_RSRC2:SCRATCH_EN: 0
; COMPUTE_PGM_RSRC2:USER_SGPR: 13
; COMPUTE_PGM_RSRC2:TRAP_HANDLER: 0
; COMPUTE_PGM_RSRC2:TGID_X_EN: 1
; COMPUTE_PGM_RSRC2:TGID_Y_EN: 1
; COMPUTE_PGM_RSRC2:TGID_Z_EN: 1
; COMPUTE_PGM_RSRC2:TIDIG_COMP_CNT: 0
	.section	.text._ZN2at6native12_GLOBAL__N_131replication_pad_backward_kernelIN3c104HalfEEEvN5torch10headeronly6detail27GenericPackedTensorAccessorINS7_14TensorAccessorINS3_8ArrayRefIlEET_Lm2ENS6_16DefaultPtrTraitsElEENS_6detail16IndexBoundsCheckILm3ElEESC_Lm3ESD_lEENS8_INS9_ISB_KSC_Lm2ESD_lEESH_SJ_Lm3ESD_lEEiii,"axG",@progbits,_ZN2at6native12_GLOBAL__N_131replication_pad_backward_kernelIN3c104HalfEEEvN5torch10headeronly6detail27GenericPackedTensorAccessorINS7_14TensorAccessorINS3_8ArrayRefIlEET_Lm2ENS6_16DefaultPtrTraitsElEENS_6detail16IndexBoundsCheckILm3ElEESC_Lm3ESD_lEENS8_INS9_ISB_KSC_Lm2ESD_lEESH_SJ_Lm3ESD_lEEiii,comdat
	.globl	_ZN2at6native12_GLOBAL__N_131replication_pad_backward_kernelIN3c104HalfEEEvN5torch10headeronly6detail27GenericPackedTensorAccessorINS7_14TensorAccessorINS3_8ArrayRefIlEET_Lm2ENS6_16DefaultPtrTraitsElEENS_6detail16IndexBoundsCheckILm3ElEESC_Lm3ESD_lEENS8_INS9_ISB_KSC_Lm2ESD_lEESH_SJ_Lm3ESD_lEEiii ; -- Begin function _ZN2at6native12_GLOBAL__N_131replication_pad_backward_kernelIN3c104HalfEEEvN5torch10headeronly6detail27GenericPackedTensorAccessorINS7_14TensorAccessorINS3_8ArrayRefIlEET_Lm2ENS6_16DefaultPtrTraitsElEENS_6detail16IndexBoundsCheckILm3ElEESC_Lm3ESD_lEENS8_INS9_ISB_KSC_Lm2ESD_lEESH_SJ_Lm3ESD_lEEiii
	.p2align	8
	.type	_ZN2at6native12_GLOBAL__N_131replication_pad_backward_kernelIN3c104HalfEEEvN5torch10headeronly6detail27GenericPackedTensorAccessorINS7_14TensorAccessorINS3_8ArrayRefIlEET_Lm2ENS6_16DefaultPtrTraitsElEENS_6detail16IndexBoundsCheckILm3ElEESC_Lm3ESD_lEENS8_INS9_ISB_KSC_Lm2ESD_lEESH_SJ_Lm3ESD_lEEiii,@function
_ZN2at6native12_GLOBAL__N_131replication_pad_backward_kernelIN3c104HalfEEEvN5torch10headeronly6detail27GenericPackedTensorAccessorINS7_14TensorAccessorINS3_8ArrayRefIlEET_Lm2ENS6_16DefaultPtrTraitsElEENS_6detail16IndexBoundsCheckILm3ElEESC_Lm3ESD_lEENS8_INS9_ISB_KSC_Lm2ESD_lEESH_SJ_Lm3ESD_lEEiii: ; @_ZN2at6native12_GLOBAL__N_131replication_pad_backward_kernelIN3c104HalfEEEvN5torch10headeronly6detail27GenericPackedTensorAccessorINS7_14TensorAccessorINS3_8ArrayRefIlEET_Lm2ENS6_16DefaultPtrTraitsElEENS_6detail16IndexBoundsCheckILm3ElEESC_Lm3ESD_lEENS8_INS9_ISB_KSC_Lm2ESD_lEESH_SJ_Lm3ESD_lEEiii
; %bb.0:
	s_clause 0x1
	s_load_b32 s2, s[0:1], 0x8c
	s_load_b64 s[4:5], s[0:1], 0x50
	v_mov_b32_e32 v4, 0
	s_delay_alu instid0(VALU_DEP_1)
	v_mov_b32_e32 v1, v4
	s_waitcnt lgkmcnt(0)
	s_and_b32 s2, s2, 0xffff
	s_delay_alu instid0(VALU_DEP_1) | instid1(SALU_CYCLE_1)
	v_mad_u64_u32 v[2:3], null, s2, s13, v[0:1]
	s_mov_b32 s2, exec_lo
	s_delay_alu instid0(VALU_DEP_1)
	v_cmpx_gt_i64_e64 s[4:5], v[2:3]
	s_cbranch_execz .LBB27_11
; %bb.1:
	v_or_b32_e32 v5, s5, v3
                                        ; implicit-def: $vgpr0_vgpr1
	s_mov_b32 s2, exec_lo
	s_delay_alu instid0(VALU_DEP_1)
	v_cmpx_ne_u64_e32 0, v[4:5]
	s_xor_b32 s3, exec_lo, s2
	s_cbranch_execz .LBB27_3
; %bb.2:
	v_cvt_f32_u32_e32 v0, s4
	v_cvt_f32_u32_e32 v1, s5
	s_sub_u32 s2, 0, s4
	s_subb_u32 s6, 0, s5
	s_delay_alu instid0(VALU_DEP_1) | instskip(NEXT) | instid1(VALU_DEP_1)
	v_fmamk_f32 v0, v1, 0x4f800000, v0
	v_rcp_f32_e32 v0, v0
	s_waitcnt_depctr 0xfff
	v_mul_f32_e32 v0, 0x5f7ffffc, v0
	s_delay_alu instid0(VALU_DEP_1) | instskip(NEXT) | instid1(VALU_DEP_1)
	v_mul_f32_e32 v1, 0x2f800000, v0
	v_trunc_f32_e32 v1, v1
	s_delay_alu instid0(VALU_DEP_1) | instskip(SKIP_1) | instid1(VALU_DEP_2)
	v_fmamk_f32 v0, v1, 0xcf800000, v0
	v_cvt_u32_f32_e32 v1, v1
	v_cvt_u32_f32_e32 v0, v0
	s_delay_alu instid0(VALU_DEP_2) | instskip(NEXT) | instid1(VALU_DEP_2)
	v_mul_lo_u32 v4, s2, v1
	v_mul_hi_u32 v5, s2, v0
	v_mul_lo_u32 v6, s6, v0
	s_delay_alu instid0(VALU_DEP_2) | instskip(SKIP_1) | instid1(VALU_DEP_2)
	v_add_nc_u32_e32 v4, v5, v4
	v_mul_lo_u32 v5, s2, v0
	v_add_nc_u32_e32 v4, v4, v6
	s_delay_alu instid0(VALU_DEP_2) | instskip(NEXT) | instid1(VALU_DEP_2)
	v_mul_hi_u32 v6, v0, v5
	v_mul_lo_u32 v7, v0, v4
	v_mul_hi_u32 v8, v0, v4
	v_mul_hi_u32 v9, v1, v5
	v_mul_lo_u32 v5, v1, v5
	v_mul_hi_u32 v10, v1, v4
	v_mul_lo_u32 v4, v1, v4
	v_add_co_u32 v6, vcc_lo, v6, v7
	v_add_co_ci_u32_e32 v7, vcc_lo, 0, v8, vcc_lo
	s_delay_alu instid0(VALU_DEP_2) | instskip(NEXT) | instid1(VALU_DEP_2)
	v_add_co_u32 v5, vcc_lo, v6, v5
	v_add_co_ci_u32_e32 v5, vcc_lo, v7, v9, vcc_lo
	v_add_co_ci_u32_e32 v6, vcc_lo, 0, v10, vcc_lo
	s_delay_alu instid0(VALU_DEP_2) | instskip(NEXT) | instid1(VALU_DEP_2)
	v_add_co_u32 v4, vcc_lo, v5, v4
	v_add_co_ci_u32_e32 v5, vcc_lo, 0, v6, vcc_lo
	s_delay_alu instid0(VALU_DEP_2) | instskip(NEXT) | instid1(VALU_DEP_2)
	v_add_co_u32 v0, vcc_lo, v0, v4
	v_add_co_ci_u32_e32 v1, vcc_lo, v1, v5, vcc_lo
	s_delay_alu instid0(VALU_DEP_2) | instskip(SKIP_1) | instid1(VALU_DEP_3)
	v_mul_hi_u32 v4, s2, v0
	v_mul_lo_u32 v6, s6, v0
	v_mul_lo_u32 v5, s2, v1
	s_delay_alu instid0(VALU_DEP_1) | instskip(SKIP_1) | instid1(VALU_DEP_2)
	v_add_nc_u32_e32 v4, v4, v5
	v_mul_lo_u32 v5, s2, v0
	v_add_nc_u32_e32 v4, v4, v6
	s_delay_alu instid0(VALU_DEP_2) | instskip(NEXT) | instid1(VALU_DEP_2)
	v_mul_hi_u32 v6, v0, v5
	v_mul_lo_u32 v7, v0, v4
	v_mul_hi_u32 v8, v0, v4
	v_mul_hi_u32 v9, v1, v5
	v_mul_lo_u32 v5, v1, v5
	v_mul_hi_u32 v10, v1, v4
	v_mul_lo_u32 v4, v1, v4
	v_add_co_u32 v6, vcc_lo, v6, v7
	v_add_co_ci_u32_e32 v7, vcc_lo, 0, v8, vcc_lo
	s_delay_alu instid0(VALU_DEP_2) | instskip(NEXT) | instid1(VALU_DEP_2)
	v_add_co_u32 v5, vcc_lo, v6, v5
	v_add_co_ci_u32_e32 v5, vcc_lo, v7, v9, vcc_lo
	v_add_co_ci_u32_e32 v6, vcc_lo, 0, v10, vcc_lo
	s_delay_alu instid0(VALU_DEP_2) | instskip(NEXT) | instid1(VALU_DEP_2)
	v_add_co_u32 v4, vcc_lo, v5, v4
	v_add_co_ci_u32_e32 v5, vcc_lo, 0, v6, vcc_lo
	s_delay_alu instid0(VALU_DEP_2) | instskip(NEXT) | instid1(VALU_DEP_2)
	v_add_co_u32 v6, vcc_lo, v0, v4
	v_add_co_ci_u32_e32 v8, vcc_lo, v1, v5, vcc_lo
	s_delay_alu instid0(VALU_DEP_2) | instskip(SKIP_1) | instid1(VALU_DEP_3)
	v_mul_hi_u32 v9, v2, v6
	v_mad_u64_u32 v[4:5], null, v3, v6, 0
	v_mad_u64_u32 v[0:1], null, v2, v8, 0
	;; [unrolled: 1-line block ×3, first 2 shown]
	s_delay_alu instid0(VALU_DEP_2) | instskip(NEXT) | instid1(VALU_DEP_3)
	v_add_co_u32 v0, vcc_lo, v9, v0
	v_add_co_ci_u32_e32 v1, vcc_lo, 0, v1, vcc_lo
	s_delay_alu instid0(VALU_DEP_2) | instskip(NEXT) | instid1(VALU_DEP_2)
	v_add_co_u32 v0, vcc_lo, v0, v4
	v_add_co_ci_u32_e32 v0, vcc_lo, v1, v5, vcc_lo
	v_add_co_ci_u32_e32 v1, vcc_lo, 0, v7, vcc_lo
	s_delay_alu instid0(VALU_DEP_2) | instskip(NEXT) | instid1(VALU_DEP_2)
	v_add_co_u32 v4, vcc_lo, v0, v6
	v_add_co_ci_u32_e32 v5, vcc_lo, 0, v1, vcc_lo
	s_delay_alu instid0(VALU_DEP_2) | instskip(SKIP_1) | instid1(VALU_DEP_3)
	v_mul_lo_u32 v6, s5, v4
	v_mad_u64_u32 v[0:1], null, s4, v4, 0
	v_mul_lo_u32 v4, s4, v5
	s_delay_alu instid0(VALU_DEP_2) | instskip(NEXT) | instid1(VALU_DEP_2)
	v_sub_co_u32 v0, vcc_lo, v2, v0
	v_add3_u32 v1, v1, v4, v6
	s_delay_alu instid0(VALU_DEP_1) | instskip(NEXT) | instid1(VALU_DEP_1)
	v_sub_nc_u32_e32 v4, v3, v1
	v_subrev_co_ci_u32_e64 v2, s2, s5, v4, vcc_lo
	v_sub_co_ci_u32_e32 v1, vcc_lo, v3, v1, vcc_lo
	v_sub_co_u32 v3, vcc_lo, v0, s4
	s_delay_alu instid0(VALU_DEP_1) | instskip(SKIP_3) | instid1(VALU_DEP_3)
	v_subrev_co_ci_u32_e64 v4, s2, 0, v2, vcc_lo
	v_cmp_le_u32_e64 s2, s4, v0
	v_subrev_co_ci_u32_e32 v2, vcc_lo, s5, v2, vcc_lo
	v_cmp_le_u32_e32 vcc_lo, s5, v1
	v_cndmask_b32_e64 v5, 0, -1, s2
	v_cmp_le_u32_e64 s2, s4, v3
	v_cndmask_b32_e64 v8, 0, -1, vcc_lo
	v_cmp_eq_u32_e32 vcc_lo, s5, v4
	s_delay_alu instid0(VALU_DEP_3) | instskip(SKIP_1) | instid1(VALU_DEP_1)
	v_cndmask_b32_e64 v6, 0, -1, s2
	v_cmp_le_u32_e64 s2, s5, v4
	v_cndmask_b32_e64 v7, 0, -1, s2
	v_cmp_eq_u32_e64 s2, s5, v1
	s_delay_alu instid0(VALU_DEP_2) | instskip(SKIP_2) | instid1(VALU_DEP_3)
	v_cndmask_b32_e32 v6, v7, v6, vcc_lo
	v_sub_co_u32 v7, vcc_lo, v3, s4
	v_subrev_co_ci_u32_e32 v2, vcc_lo, 0, v2, vcc_lo
	v_cmp_ne_u32_e32 vcc_lo, 0, v6
	v_cndmask_b32_e64 v5, v8, v5, s2
	s_delay_alu instid0(VALU_DEP_3) | instskip(NEXT) | instid1(VALU_DEP_2)
	v_dual_cndmask_b32 v2, v4, v2 :: v_dual_cndmask_b32 v3, v3, v7
	v_cmp_ne_u32_e32 vcc_lo, 0, v5
	s_delay_alu instid0(VALU_DEP_2)
	v_dual_cndmask_b32 v1, v1, v2 :: v_dual_cndmask_b32 v0, v0, v3
                                        ; implicit-def: $vgpr2_vgpr3
.LBB27_3:
	s_and_not1_saveexec_b32 s2, s3
	s_cbranch_execz .LBB27_5
; %bb.4:
	v_cvt_f32_u32_e32 v0, s4
	s_sub_i32 s3, 0, s4
	s_delay_alu instid0(VALU_DEP_1) | instskip(SKIP_2) | instid1(VALU_DEP_1)
	v_rcp_iflag_f32_e32 v0, v0
	s_waitcnt_depctr 0xfff
	v_mul_f32_e32 v0, 0x4f7ffffe, v0
	v_cvt_u32_f32_e32 v0, v0
	s_delay_alu instid0(VALU_DEP_1) | instskip(NEXT) | instid1(VALU_DEP_1)
	v_mul_lo_u32 v1, s3, v0
	v_mul_hi_u32 v1, v0, v1
	s_delay_alu instid0(VALU_DEP_1) | instskip(NEXT) | instid1(VALU_DEP_1)
	v_add_nc_u32_e32 v0, v0, v1
	v_mul_hi_u32 v0, v2, v0
	s_delay_alu instid0(VALU_DEP_1) | instskip(NEXT) | instid1(VALU_DEP_1)
	v_mul_lo_u32 v0, v0, s4
	v_sub_nc_u32_e32 v0, v2, v0
	s_delay_alu instid0(VALU_DEP_1) | instskip(SKIP_1) | instid1(VALU_DEP_2)
	v_subrev_nc_u32_e32 v1, s4, v0
	v_cmp_le_u32_e32 vcc_lo, s4, v0
	v_cndmask_b32_e32 v0, v0, v1, vcc_lo
	s_delay_alu instid0(VALU_DEP_1) | instskip(SKIP_1) | instid1(VALU_DEP_2)
	v_subrev_nc_u32_e32 v1, s4, v0
	v_cmp_le_u32_e32 vcc_lo, s4, v0
	v_dual_cndmask_b32 v0, v0, v1 :: v_dual_mov_b32 v1, 0
.LBB27_5:
	s_or_b32 exec_lo, exec_lo, s2
	s_clause 0x5
	s_load_b128 s[16:19], s[0:1], 0x70
	s_load_b256 s[4:11], s[0:1], 0x18
	s_load_b64 s[2:3], s[0:1], 0x68
	s_load_b128 s[20:23], s[0:1], 0x58
	s_load_b64 s[12:13], s[0:1], 0x38
	s_load_b64 s[0:1], s[0:1], 0x0
	s_waitcnt lgkmcnt(0)
	s_sub_i32 s5, 0, s16
	s_add_i32 s4, s16, s4
	v_mul_lo_u32 v5, s3, v0
	s_max_i32 s3, s5, 0
	s_add_i32 s5, s4, -1
	v_mul_lo_u32 v6, s2, v1
	v_mad_u64_u32 v[1:2], null, s2, v0, 0
	v_maxmin_i32 v0, s16, v0, s5
	s_add_i32 s14, s14, s17
	s_max_i32 s17, s16, 0
	s_add_i32 s15, s15, s18
	s_sub_i32 s5, s3, s17
	s_mul_i32 s18, s21, s15
	v_add_nc_u32_e32 v0, s5, v0
	s_mul_hi_u32 s19, s20, s15
	s_mul_i32 s2, s20, s15
	s_add_i32 s3, s19, s18
	s_mul_i32 s20, s23, s14
	v_ashrrev_i32_e32 v7, 31, v0
	s_lshl_b64 s[2:3], s[2:3], 1
	v_mul_lo_u32 v8, s11, v0
	v_mad_u64_u32 v[3:4], null, s10, v0, 0
	s_delay_alu instid0(VALU_DEP_3)
	v_mul_lo_u32 v0, s10, v7
	s_mul_hi_u32 s21, s22, s14
	s_add_u32 s12, s12, s2
	s_mul_i32 s4, s22, s14
	s_addc_u32 s13, s13, s3
	s_add_i32 s5, s21, s20
	s_mul_i32 s7, s7, s15
	s_lshl_b64 s[2:3], s[4:5], 1
	s_mul_hi_u32 s16, s6, s15
	s_add_u32 s11, s12, s2
	s_mul_i32 s6, s6, s15
	s_addc_u32 s12, s13, s3
	s_add_i32 s7, s16, s7
	v_add3_u32 v4, v4, v0, v8
	s_lshl_b64 s[4:5], s[6:7], 1
	v_add3_u32 v2, v2, v6, v5
	s_mul_i32 s9, s9, s14
	s_mul_hi_u32 s10, s8, s14
	s_add_u32 s4, s0, s4
	s_mul_i32 s2, s8, s14
	s_addc_u32 s5, s1, s5
	s_add_i32 s3, s10, s9
	v_lshlrev_b64 v[3:4], 1, v[3:4]
	s_lshl_b64 s[0:1], s[2:3], 1
	v_lshlrev_b64 v[0:1], 1, v[1:2]
	s_add_u32 s0, s4, s0
	s_addc_u32 s1, s5, s1
	v_mov_b32_e32 v6, 0
	v_add_co_u32 v5, vcc_lo, s0, v3
	s_delay_alu instid0(VALU_DEP_3) | instskip(NEXT) | instid1(VALU_DEP_1)
	v_add_co_u32 v2, s0, s11, v0
	v_add_co_ci_u32_e64 v3, s0, s12, v1, s0
	v_add_co_ci_u32_e32 v1, vcc_lo, s1, v4, vcc_lo
	s_delay_alu instid0(VALU_DEP_4) | instskip(SKIP_4) | instid1(VALU_DEP_1)
	v_and_b32_e32 v0, -3, v5
	global_load_u16 v4, v[2:3], off
	global_load_b32 v3, v[0:1], off
	v_and_b32_e32 v5, 2, v5
	s_mov_b32 s2, 0
	v_cmp_eq_u64_e32 vcc_lo, 0, v[5:6]
	v_cmp_ne_u32_e64 s0, 0, v5
	s_set_inst_prefetch_distance 0x1
	s_branch .LBB27_7
	.p2align	6
.LBB27_6:                               ;   in Loop: Header=BB27_7 Depth=1
	s_or_b32 exec_lo, exec_lo, s1
	global_atomic_cmpswap_b32 v2, v[0:1], v[2:3], off glc
	s_waitcnt vmcnt(0)
	v_cmp_eq_u32_e64 s1, v3, v2
	v_mov_b32_e32 v3, v2
	s_delay_alu instid0(VALU_DEP_2) | instskip(NEXT) | instid1(SALU_CYCLE_1)
	s_or_b32 s2, s1, s2
	s_and_not1_b32 exec_lo, exec_lo, s2
	s_cbranch_execz .LBB27_11
.LBB27_7:                               ; =>This Inner Loop Header: Depth=1
	s_waitcnt vmcnt(0)
	v_lshrrev_b32_e32 v2, 16, v3
	s_delay_alu instid0(VALU_DEP_1) | instskip(NEXT) | instid1(VALU_DEP_1)
	v_cndmask_b32_e32 v2, v2, v3, vcc_lo
	v_add_f16_e32 v2, v4, v2
	s_delay_alu instid0(VALU_DEP_1) | instskip(SKIP_1) | instid1(SALU_CYCLE_1)
	v_and_b32_e32 v5, 0xffff, v2
	s_and_saveexec_b32 s1, s0
	s_xor_b32 s1, exec_lo, s1
; %bb.8:                                ;   in Loop: Header=BB27_7 Depth=1
	v_and_b32_e32 v2, 0xffff, v3
	s_delay_alu instid0(VALU_DEP_1)
	v_lshl_or_b32 v2, v5, 16, v2
                                        ; implicit-def: $vgpr5
; %bb.9:                                ;   in Loop: Header=BB27_7 Depth=1
	s_and_not1_saveexec_b32 s1, s1
	s_cbranch_execz .LBB27_6
; %bb.10:                               ;   in Loop: Header=BB27_7 Depth=1
	v_and_or_b32 v2, 0xffff0000, v3, v5
	s_branch .LBB27_6
.LBB27_11:
	s_set_inst_prefetch_distance 0x2
	s_endpgm
	.section	.rodata,"a",@progbits
	.p2align	6, 0x0
	.amdhsa_kernel _ZN2at6native12_GLOBAL__N_131replication_pad_backward_kernelIN3c104HalfEEEvN5torch10headeronly6detail27GenericPackedTensorAccessorINS7_14TensorAccessorINS3_8ArrayRefIlEET_Lm2ENS6_16DefaultPtrTraitsElEENS_6detail16IndexBoundsCheckILm3ElEESC_Lm3ESD_lEENS8_INS9_ISB_KSC_Lm2ESD_lEESH_SJ_Lm3ESD_lEEiii
		.amdhsa_group_segment_fixed_size 0
		.amdhsa_private_segment_fixed_size 0
		.amdhsa_kernarg_size 384
		.amdhsa_user_sgpr_count 13
		.amdhsa_user_sgpr_dispatch_ptr 0
		.amdhsa_user_sgpr_queue_ptr 0
		.amdhsa_user_sgpr_kernarg_segment_ptr 1
		.amdhsa_user_sgpr_dispatch_id 0
		.amdhsa_user_sgpr_private_segment_size 0
		.amdhsa_wavefront_size32 1
		.amdhsa_uses_dynamic_stack 0
		.amdhsa_enable_private_segment 0
		.amdhsa_system_sgpr_workgroup_id_x 1
		.amdhsa_system_sgpr_workgroup_id_y 1
		.amdhsa_system_sgpr_workgroup_id_z 1
		.amdhsa_system_sgpr_workgroup_info 0
		.amdhsa_system_vgpr_workitem_id 0
		.amdhsa_next_free_vgpr 11
		.amdhsa_next_free_sgpr 24
		.amdhsa_reserve_vcc 1
		.amdhsa_float_round_mode_32 0
		.amdhsa_float_round_mode_16_64 0
		.amdhsa_float_denorm_mode_32 3
		.amdhsa_float_denorm_mode_16_64 3
		.amdhsa_dx10_clamp 1
		.amdhsa_ieee_mode 1
		.amdhsa_fp16_overflow 0
		.amdhsa_workgroup_processor_mode 1
		.amdhsa_memory_ordered 1
		.amdhsa_forward_progress 0
		.amdhsa_shared_vgpr_count 0
		.amdhsa_exception_fp_ieee_invalid_op 0
		.amdhsa_exception_fp_denorm_src 0
		.amdhsa_exception_fp_ieee_div_zero 0
		.amdhsa_exception_fp_ieee_overflow 0
		.amdhsa_exception_fp_ieee_underflow 0
		.amdhsa_exception_fp_ieee_inexact 0
		.amdhsa_exception_int_div_zero 0
	.end_amdhsa_kernel
	.section	.text._ZN2at6native12_GLOBAL__N_131replication_pad_backward_kernelIN3c104HalfEEEvN5torch10headeronly6detail27GenericPackedTensorAccessorINS7_14TensorAccessorINS3_8ArrayRefIlEET_Lm2ENS6_16DefaultPtrTraitsElEENS_6detail16IndexBoundsCheckILm3ElEESC_Lm3ESD_lEENS8_INS9_ISB_KSC_Lm2ESD_lEESH_SJ_Lm3ESD_lEEiii,"axG",@progbits,_ZN2at6native12_GLOBAL__N_131replication_pad_backward_kernelIN3c104HalfEEEvN5torch10headeronly6detail27GenericPackedTensorAccessorINS7_14TensorAccessorINS3_8ArrayRefIlEET_Lm2ENS6_16DefaultPtrTraitsElEENS_6detail16IndexBoundsCheckILm3ElEESC_Lm3ESD_lEENS8_INS9_ISB_KSC_Lm2ESD_lEESH_SJ_Lm3ESD_lEEiii,comdat
.Lfunc_end27:
	.size	_ZN2at6native12_GLOBAL__N_131replication_pad_backward_kernelIN3c104HalfEEEvN5torch10headeronly6detail27GenericPackedTensorAccessorINS7_14TensorAccessorINS3_8ArrayRefIlEET_Lm2ENS6_16DefaultPtrTraitsElEENS_6detail16IndexBoundsCheckILm3ElEESC_Lm3ESD_lEENS8_INS9_ISB_KSC_Lm2ESD_lEESH_SJ_Lm3ESD_lEEiii, .Lfunc_end27-_ZN2at6native12_GLOBAL__N_131replication_pad_backward_kernelIN3c104HalfEEEvN5torch10headeronly6detail27GenericPackedTensorAccessorINS7_14TensorAccessorINS3_8ArrayRefIlEET_Lm2ENS6_16DefaultPtrTraitsElEENS_6detail16IndexBoundsCheckILm3ElEESC_Lm3ESD_lEENS8_INS9_ISB_KSC_Lm2ESD_lEESH_SJ_Lm3ESD_lEEiii
                                        ; -- End function
	.section	.AMDGPU.csdata,"",@progbits
; Kernel info:
; codeLenInByte = 1496
; NumSgprs: 26
; NumVgprs: 11
; ScratchSize: 0
; MemoryBound: 0
; FloatMode: 240
; IeeeMode: 1
; LDSByteSize: 0 bytes/workgroup (compile time only)
; SGPRBlocks: 3
; VGPRBlocks: 1
; NumSGPRsForWavesPerEU: 26
; NumVGPRsForWavesPerEU: 11
; Occupancy: 16
; WaveLimiterHint : 1
; COMPUTE_PGM_RSRC2:SCRATCH_EN: 0
; COMPUTE_PGM_RSRC2:USER_SGPR: 13
; COMPUTE_PGM_RSRC2:TRAP_HANDLER: 0
; COMPUTE_PGM_RSRC2:TGID_X_EN: 1
; COMPUTE_PGM_RSRC2:TGID_Y_EN: 1
; COMPUTE_PGM_RSRC2:TGID_Z_EN: 1
; COMPUTE_PGM_RSRC2:TIDIG_COMP_CNT: 0
	.section	.text._ZN2at6native12_GLOBAL__N_131replication_pad_backward_kernelIN3c108BFloat16EEEvN5torch10headeronly6detail27GenericPackedTensorAccessorINS7_14TensorAccessorINS3_8ArrayRefIlEET_Lm2ENS6_16DefaultPtrTraitsElEENS_6detail16IndexBoundsCheckILm3ElEESC_Lm3ESD_lEENS8_INS9_ISB_KSC_Lm2ESD_lEESH_SJ_Lm3ESD_lEEiii,"axG",@progbits,_ZN2at6native12_GLOBAL__N_131replication_pad_backward_kernelIN3c108BFloat16EEEvN5torch10headeronly6detail27GenericPackedTensorAccessorINS7_14TensorAccessorINS3_8ArrayRefIlEET_Lm2ENS6_16DefaultPtrTraitsElEENS_6detail16IndexBoundsCheckILm3ElEESC_Lm3ESD_lEENS8_INS9_ISB_KSC_Lm2ESD_lEESH_SJ_Lm3ESD_lEEiii,comdat
	.globl	_ZN2at6native12_GLOBAL__N_131replication_pad_backward_kernelIN3c108BFloat16EEEvN5torch10headeronly6detail27GenericPackedTensorAccessorINS7_14TensorAccessorINS3_8ArrayRefIlEET_Lm2ENS6_16DefaultPtrTraitsElEENS_6detail16IndexBoundsCheckILm3ElEESC_Lm3ESD_lEENS8_INS9_ISB_KSC_Lm2ESD_lEESH_SJ_Lm3ESD_lEEiii ; -- Begin function _ZN2at6native12_GLOBAL__N_131replication_pad_backward_kernelIN3c108BFloat16EEEvN5torch10headeronly6detail27GenericPackedTensorAccessorINS7_14TensorAccessorINS3_8ArrayRefIlEET_Lm2ENS6_16DefaultPtrTraitsElEENS_6detail16IndexBoundsCheckILm3ElEESC_Lm3ESD_lEENS8_INS9_ISB_KSC_Lm2ESD_lEESH_SJ_Lm3ESD_lEEiii
	.p2align	8
	.type	_ZN2at6native12_GLOBAL__N_131replication_pad_backward_kernelIN3c108BFloat16EEEvN5torch10headeronly6detail27GenericPackedTensorAccessorINS7_14TensorAccessorINS3_8ArrayRefIlEET_Lm2ENS6_16DefaultPtrTraitsElEENS_6detail16IndexBoundsCheckILm3ElEESC_Lm3ESD_lEENS8_INS9_ISB_KSC_Lm2ESD_lEESH_SJ_Lm3ESD_lEEiii,@function
_ZN2at6native12_GLOBAL__N_131replication_pad_backward_kernelIN3c108BFloat16EEEvN5torch10headeronly6detail27GenericPackedTensorAccessorINS7_14TensorAccessorINS3_8ArrayRefIlEET_Lm2ENS6_16DefaultPtrTraitsElEENS_6detail16IndexBoundsCheckILm3ElEESC_Lm3ESD_lEENS8_INS9_ISB_KSC_Lm2ESD_lEESH_SJ_Lm3ESD_lEEiii: ; @_ZN2at6native12_GLOBAL__N_131replication_pad_backward_kernelIN3c108BFloat16EEEvN5torch10headeronly6detail27GenericPackedTensorAccessorINS7_14TensorAccessorINS3_8ArrayRefIlEET_Lm2ENS6_16DefaultPtrTraitsElEENS_6detail16IndexBoundsCheckILm3ElEESC_Lm3ESD_lEENS8_INS9_ISB_KSC_Lm2ESD_lEESH_SJ_Lm3ESD_lEEiii
; %bb.0:
	s_clause 0x1
	s_load_b32 s2, s[0:1], 0x8c
	s_load_b64 s[4:5], s[0:1], 0x50
	v_mov_b32_e32 v4, 0
	s_delay_alu instid0(VALU_DEP_1)
	v_mov_b32_e32 v1, v4
	s_waitcnt lgkmcnt(0)
	s_and_b32 s2, s2, 0xffff
	s_delay_alu instid0(VALU_DEP_1) | instid1(SALU_CYCLE_1)
	v_mad_u64_u32 v[2:3], null, s2, s13, v[0:1]
	s_mov_b32 s2, exec_lo
	s_delay_alu instid0(VALU_DEP_1)
	v_cmpx_gt_i64_e64 s[4:5], v[2:3]
	s_cbranch_execz .LBB28_11
; %bb.1:
	v_or_b32_e32 v5, s5, v3
                                        ; implicit-def: $vgpr0_vgpr1
	s_mov_b32 s2, exec_lo
	s_delay_alu instid0(VALU_DEP_1)
	v_cmpx_ne_u64_e32 0, v[4:5]
	s_xor_b32 s3, exec_lo, s2
	s_cbranch_execz .LBB28_3
; %bb.2:
	v_cvt_f32_u32_e32 v0, s4
	v_cvt_f32_u32_e32 v1, s5
	s_sub_u32 s2, 0, s4
	s_subb_u32 s6, 0, s5
	s_delay_alu instid0(VALU_DEP_1) | instskip(NEXT) | instid1(VALU_DEP_1)
	v_fmamk_f32 v0, v1, 0x4f800000, v0
	v_rcp_f32_e32 v0, v0
	s_waitcnt_depctr 0xfff
	v_mul_f32_e32 v0, 0x5f7ffffc, v0
	s_delay_alu instid0(VALU_DEP_1) | instskip(NEXT) | instid1(VALU_DEP_1)
	v_mul_f32_e32 v1, 0x2f800000, v0
	v_trunc_f32_e32 v1, v1
	s_delay_alu instid0(VALU_DEP_1) | instskip(SKIP_1) | instid1(VALU_DEP_2)
	v_fmamk_f32 v0, v1, 0xcf800000, v0
	v_cvt_u32_f32_e32 v1, v1
	v_cvt_u32_f32_e32 v0, v0
	s_delay_alu instid0(VALU_DEP_2) | instskip(NEXT) | instid1(VALU_DEP_2)
	v_mul_lo_u32 v4, s2, v1
	v_mul_hi_u32 v5, s2, v0
	v_mul_lo_u32 v6, s6, v0
	s_delay_alu instid0(VALU_DEP_2) | instskip(SKIP_1) | instid1(VALU_DEP_2)
	v_add_nc_u32_e32 v4, v5, v4
	v_mul_lo_u32 v5, s2, v0
	v_add_nc_u32_e32 v4, v4, v6
	s_delay_alu instid0(VALU_DEP_2) | instskip(NEXT) | instid1(VALU_DEP_2)
	v_mul_hi_u32 v6, v0, v5
	v_mul_lo_u32 v7, v0, v4
	v_mul_hi_u32 v8, v0, v4
	v_mul_hi_u32 v9, v1, v5
	v_mul_lo_u32 v5, v1, v5
	v_mul_hi_u32 v10, v1, v4
	v_mul_lo_u32 v4, v1, v4
	v_add_co_u32 v6, vcc_lo, v6, v7
	v_add_co_ci_u32_e32 v7, vcc_lo, 0, v8, vcc_lo
	s_delay_alu instid0(VALU_DEP_2) | instskip(NEXT) | instid1(VALU_DEP_2)
	v_add_co_u32 v5, vcc_lo, v6, v5
	v_add_co_ci_u32_e32 v5, vcc_lo, v7, v9, vcc_lo
	v_add_co_ci_u32_e32 v6, vcc_lo, 0, v10, vcc_lo
	s_delay_alu instid0(VALU_DEP_2) | instskip(NEXT) | instid1(VALU_DEP_2)
	v_add_co_u32 v4, vcc_lo, v5, v4
	v_add_co_ci_u32_e32 v5, vcc_lo, 0, v6, vcc_lo
	s_delay_alu instid0(VALU_DEP_2) | instskip(NEXT) | instid1(VALU_DEP_2)
	v_add_co_u32 v0, vcc_lo, v0, v4
	v_add_co_ci_u32_e32 v1, vcc_lo, v1, v5, vcc_lo
	s_delay_alu instid0(VALU_DEP_2) | instskip(SKIP_1) | instid1(VALU_DEP_3)
	v_mul_hi_u32 v4, s2, v0
	v_mul_lo_u32 v6, s6, v0
	v_mul_lo_u32 v5, s2, v1
	s_delay_alu instid0(VALU_DEP_1) | instskip(SKIP_1) | instid1(VALU_DEP_2)
	v_add_nc_u32_e32 v4, v4, v5
	v_mul_lo_u32 v5, s2, v0
	v_add_nc_u32_e32 v4, v4, v6
	s_delay_alu instid0(VALU_DEP_2) | instskip(NEXT) | instid1(VALU_DEP_2)
	v_mul_hi_u32 v6, v0, v5
	v_mul_lo_u32 v7, v0, v4
	v_mul_hi_u32 v8, v0, v4
	v_mul_hi_u32 v9, v1, v5
	v_mul_lo_u32 v5, v1, v5
	v_mul_hi_u32 v10, v1, v4
	v_mul_lo_u32 v4, v1, v4
	v_add_co_u32 v6, vcc_lo, v6, v7
	v_add_co_ci_u32_e32 v7, vcc_lo, 0, v8, vcc_lo
	s_delay_alu instid0(VALU_DEP_2) | instskip(NEXT) | instid1(VALU_DEP_2)
	v_add_co_u32 v5, vcc_lo, v6, v5
	v_add_co_ci_u32_e32 v5, vcc_lo, v7, v9, vcc_lo
	v_add_co_ci_u32_e32 v6, vcc_lo, 0, v10, vcc_lo
	s_delay_alu instid0(VALU_DEP_2) | instskip(NEXT) | instid1(VALU_DEP_2)
	v_add_co_u32 v4, vcc_lo, v5, v4
	v_add_co_ci_u32_e32 v5, vcc_lo, 0, v6, vcc_lo
	s_delay_alu instid0(VALU_DEP_2) | instskip(NEXT) | instid1(VALU_DEP_2)
	v_add_co_u32 v6, vcc_lo, v0, v4
	v_add_co_ci_u32_e32 v8, vcc_lo, v1, v5, vcc_lo
	s_delay_alu instid0(VALU_DEP_2) | instskip(SKIP_1) | instid1(VALU_DEP_3)
	v_mul_hi_u32 v9, v2, v6
	v_mad_u64_u32 v[4:5], null, v3, v6, 0
	v_mad_u64_u32 v[0:1], null, v2, v8, 0
	;; [unrolled: 1-line block ×3, first 2 shown]
	s_delay_alu instid0(VALU_DEP_2) | instskip(NEXT) | instid1(VALU_DEP_3)
	v_add_co_u32 v0, vcc_lo, v9, v0
	v_add_co_ci_u32_e32 v1, vcc_lo, 0, v1, vcc_lo
	s_delay_alu instid0(VALU_DEP_2) | instskip(NEXT) | instid1(VALU_DEP_2)
	v_add_co_u32 v0, vcc_lo, v0, v4
	v_add_co_ci_u32_e32 v0, vcc_lo, v1, v5, vcc_lo
	v_add_co_ci_u32_e32 v1, vcc_lo, 0, v7, vcc_lo
	s_delay_alu instid0(VALU_DEP_2) | instskip(NEXT) | instid1(VALU_DEP_2)
	v_add_co_u32 v4, vcc_lo, v0, v6
	v_add_co_ci_u32_e32 v5, vcc_lo, 0, v1, vcc_lo
	s_delay_alu instid0(VALU_DEP_2) | instskip(SKIP_1) | instid1(VALU_DEP_3)
	v_mul_lo_u32 v6, s5, v4
	v_mad_u64_u32 v[0:1], null, s4, v4, 0
	v_mul_lo_u32 v4, s4, v5
	s_delay_alu instid0(VALU_DEP_2) | instskip(NEXT) | instid1(VALU_DEP_2)
	v_sub_co_u32 v0, vcc_lo, v2, v0
	v_add3_u32 v1, v1, v4, v6
	s_delay_alu instid0(VALU_DEP_1) | instskip(NEXT) | instid1(VALU_DEP_1)
	v_sub_nc_u32_e32 v4, v3, v1
	v_subrev_co_ci_u32_e64 v2, s2, s5, v4, vcc_lo
	v_sub_co_ci_u32_e32 v1, vcc_lo, v3, v1, vcc_lo
	v_sub_co_u32 v3, vcc_lo, v0, s4
	s_delay_alu instid0(VALU_DEP_1) | instskip(SKIP_3) | instid1(VALU_DEP_3)
	v_subrev_co_ci_u32_e64 v4, s2, 0, v2, vcc_lo
	v_cmp_le_u32_e64 s2, s4, v0
	v_subrev_co_ci_u32_e32 v2, vcc_lo, s5, v2, vcc_lo
	v_cmp_le_u32_e32 vcc_lo, s5, v1
	v_cndmask_b32_e64 v5, 0, -1, s2
	v_cmp_le_u32_e64 s2, s4, v3
	v_cndmask_b32_e64 v8, 0, -1, vcc_lo
	v_cmp_eq_u32_e32 vcc_lo, s5, v4
	s_delay_alu instid0(VALU_DEP_3) | instskip(SKIP_1) | instid1(VALU_DEP_1)
	v_cndmask_b32_e64 v6, 0, -1, s2
	v_cmp_le_u32_e64 s2, s5, v4
	v_cndmask_b32_e64 v7, 0, -1, s2
	v_cmp_eq_u32_e64 s2, s5, v1
	s_delay_alu instid0(VALU_DEP_2) | instskip(SKIP_2) | instid1(VALU_DEP_3)
	v_cndmask_b32_e32 v6, v7, v6, vcc_lo
	v_sub_co_u32 v7, vcc_lo, v3, s4
	v_subrev_co_ci_u32_e32 v2, vcc_lo, 0, v2, vcc_lo
	v_cmp_ne_u32_e32 vcc_lo, 0, v6
	v_cndmask_b32_e64 v5, v8, v5, s2
	s_delay_alu instid0(VALU_DEP_3) | instskip(NEXT) | instid1(VALU_DEP_2)
	v_dual_cndmask_b32 v2, v4, v2 :: v_dual_cndmask_b32 v3, v3, v7
	v_cmp_ne_u32_e32 vcc_lo, 0, v5
	s_delay_alu instid0(VALU_DEP_2)
	v_dual_cndmask_b32 v1, v1, v2 :: v_dual_cndmask_b32 v0, v0, v3
                                        ; implicit-def: $vgpr2_vgpr3
.LBB28_3:
	s_and_not1_saveexec_b32 s2, s3
	s_cbranch_execz .LBB28_5
; %bb.4:
	v_cvt_f32_u32_e32 v0, s4
	s_sub_i32 s3, 0, s4
	s_delay_alu instid0(VALU_DEP_1) | instskip(SKIP_2) | instid1(VALU_DEP_1)
	v_rcp_iflag_f32_e32 v0, v0
	s_waitcnt_depctr 0xfff
	v_mul_f32_e32 v0, 0x4f7ffffe, v0
	v_cvt_u32_f32_e32 v0, v0
	s_delay_alu instid0(VALU_DEP_1) | instskip(NEXT) | instid1(VALU_DEP_1)
	v_mul_lo_u32 v1, s3, v0
	v_mul_hi_u32 v1, v0, v1
	s_delay_alu instid0(VALU_DEP_1) | instskip(NEXT) | instid1(VALU_DEP_1)
	v_add_nc_u32_e32 v0, v0, v1
	v_mul_hi_u32 v0, v2, v0
	s_delay_alu instid0(VALU_DEP_1) | instskip(NEXT) | instid1(VALU_DEP_1)
	v_mul_lo_u32 v0, v0, s4
	v_sub_nc_u32_e32 v0, v2, v0
	s_delay_alu instid0(VALU_DEP_1) | instskip(SKIP_1) | instid1(VALU_DEP_2)
	v_subrev_nc_u32_e32 v1, s4, v0
	v_cmp_le_u32_e32 vcc_lo, s4, v0
	v_cndmask_b32_e32 v0, v0, v1, vcc_lo
	s_delay_alu instid0(VALU_DEP_1) | instskip(SKIP_1) | instid1(VALU_DEP_2)
	v_subrev_nc_u32_e32 v1, s4, v0
	v_cmp_le_u32_e32 vcc_lo, s4, v0
	v_dual_cndmask_b32 v0, v0, v1 :: v_dual_mov_b32 v1, 0
.LBB28_5:
	s_or_b32 exec_lo, exec_lo, s2
	s_clause 0x5
	s_load_b128 s[16:19], s[0:1], 0x70
	s_load_b256 s[4:11], s[0:1], 0x18
	s_load_b64 s[2:3], s[0:1], 0x68
	s_load_b128 s[20:23], s[0:1], 0x58
	s_load_b64 s[12:13], s[0:1], 0x38
	s_load_b64 s[0:1], s[0:1], 0x0
	s_waitcnt lgkmcnt(0)
	s_sub_i32 s5, 0, s16
	s_add_i32 s4, s16, s4
	v_mul_lo_u32 v5, s3, v0
	s_max_i32 s3, s5, 0
	s_add_i32 s5, s4, -1
	v_mul_lo_u32 v6, s2, v1
	v_mad_u64_u32 v[1:2], null, s2, v0, 0
	v_maxmin_i32 v0, s16, v0, s5
	s_add_i32 s14, s14, s17
	s_max_i32 s17, s16, 0
	s_add_i32 s15, s15, s18
	s_sub_i32 s5, s3, s17
	s_mul_i32 s18, s21, s15
	v_add_nc_u32_e32 v0, s5, v0
	s_mul_hi_u32 s19, s20, s15
	s_mul_i32 s2, s20, s15
	s_add_i32 s3, s19, s18
	s_mul_i32 s20, s23, s14
	v_ashrrev_i32_e32 v7, 31, v0
	s_lshl_b64 s[2:3], s[2:3], 1
	v_mul_lo_u32 v8, s11, v0
	v_mad_u64_u32 v[3:4], null, s10, v0, 0
	s_delay_alu instid0(VALU_DEP_3)
	v_mul_lo_u32 v0, s10, v7
	s_mul_hi_u32 s21, s22, s14
	s_add_u32 s12, s12, s2
	s_mul_i32 s4, s22, s14
	s_addc_u32 s13, s13, s3
	s_add_i32 s5, s21, s20
	s_mul_i32 s7, s7, s15
	s_lshl_b64 s[2:3], s[4:5], 1
	s_mul_hi_u32 s16, s6, s15
	s_add_u32 s11, s12, s2
	s_mul_i32 s6, s6, s15
	s_addc_u32 s12, s13, s3
	s_add_i32 s7, s16, s7
	v_add3_u32 v4, v4, v0, v8
	s_lshl_b64 s[4:5], s[6:7], 1
	v_add3_u32 v2, v2, v6, v5
	s_mul_i32 s9, s9, s14
	s_mul_hi_u32 s10, s8, s14
	s_add_u32 s4, s0, s4
	s_mul_i32 s2, s8, s14
	s_addc_u32 s5, s1, s5
	s_add_i32 s3, s10, s9
	v_lshlrev_b64 v[3:4], 1, v[3:4]
	s_lshl_b64 s[0:1], s[2:3], 1
	v_lshlrev_b64 v[0:1], 1, v[1:2]
	s_add_u32 s0, s4, s0
	s_addc_u32 s1, s5, s1
	s_mov_b32 s2, 0
	v_add_co_u32 v5, vcc_lo, s0, v3
	s_delay_alu instid0(VALU_DEP_2) | instskip(NEXT) | instid1(VALU_DEP_1)
	v_add_co_u32 v2, s0, s11, v0
	v_add_co_ci_u32_e64 v3, s0, s12, v1, s0
	v_add_co_ci_u32_e32 v1, vcc_lo, s1, v4, vcc_lo
	s_delay_alu instid0(VALU_DEP_4) | instskip(SKIP_3) | instid1(VALU_DEP_1)
	v_and_b32_e32 v0, -3, v5
	global_load_u16 v2, v[2:3], off
	global_load_b32 v3, v[0:1], off
	v_dual_mov_b32 v5, 0 :: v_dual_and_b32 v4, 2, v5
	v_cmp_ne_u32_e64 s0, 0, v4
	s_delay_alu instid0(VALU_DEP_2)
	v_cmp_eq_u64_e32 vcc_lo, 0, v[4:5]
	s_waitcnt vmcnt(1)
	v_lshlrev_b32_e32 v4, 16, v2
	s_set_inst_prefetch_distance 0x1
	s_branch .LBB28_7
	.p2align	6
.LBB28_6:                               ;   in Loop: Header=BB28_7 Depth=1
	s_or_b32 exec_lo, exec_lo, s1
	global_atomic_cmpswap_b32 v2, v[0:1], v[2:3], off glc
	s_waitcnt vmcnt(0)
	v_cmp_eq_u32_e64 s1, v3, v2
	v_mov_b32_e32 v3, v2
	s_delay_alu instid0(VALU_DEP_2) | instskip(NEXT) | instid1(SALU_CYCLE_1)
	s_or_b32 s2, s1, s2
	s_and_not1_b32 exec_lo, exec_lo, s2
	s_cbranch_execz .LBB28_11
.LBB28_7:                               ; =>This Inner Loop Header: Depth=1
	s_waitcnt vmcnt(0)
	v_lshrrev_b32_e32 v2, 16, v3
	s_delay_alu instid0(VALU_DEP_1) | instskip(NEXT) | instid1(VALU_DEP_1)
	v_cndmask_b32_e32 v2, v2, v3, vcc_lo
	v_lshlrev_b32_e32 v2, 16, v2
	s_delay_alu instid0(VALU_DEP_1) | instskip(NEXT) | instid1(VALU_DEP_1)
	v_add_f32_e32 v2, v4, v2
	v_bfe_u32 v5, v2, 16, 1
	v_cmp_o_f32_e64 s1, v2, v2
	s_delay_alu instid0(VALU_DEP_2) | instskip(NEXT) | instid1(VALU_DEP_1)
	v_add3_u32 v5, v2, v5, 0x7fff
	v_lshrrev_b32_e32 v5, 16, v5
	s_delay_alu instid0(VALU_DEP_1) | instskip(SKIP_1) | instid1(SALU_CYCLE_1)
	v_cndmask_b32_e64 v5, 0x7fc0, v5, s1
	s_and_saveexec_b32 s1, s0
	s_xor_b32 s1, exec_lo, s1
; %bb.8:                                ;   in Loop: Header=BB28_7 Depth=1
	v_and_b32_e32 v2, 0xffff, v3
	s_delay_alu instid0(VALU_DEP_1)
	v_lshl_or_b32 v2, v5, 16, v2
                                        ; implicit-def: $vgpr5
; %bb.9:                                ;   in Loop: Header=BB28_7 Depth=1
	s_and_not1_saveexec_b32 s1, s1
	s_cbranch_execz .LBB28_6
; %bb.10:                               ;   in Loop: Header=BB28_7 Depth=1
	v_and_or_b32 v2, 0xffff0000, v3, v5
	s_branch .LBB28_6
.LBB28_11:
	s_set_inst_prefetch_distance 0x2
	s_endpgm
	.section	.rodata,"a",@progbits
	.p2align	6, 0x0
	.amdhsa_kernel _ZN2at6native12_GLOBAL__N_131replication_pad_backward_kernelIN3c108BFloat16EEEvN5torch10headeronly6detail27GenericPackedTensorAccessorINS7_14TensorAccessorINS3_8ArrayRefIlEET_Lm2ENS6_16DefaultPtrTraitsElEENS_6detail16IndexBoundsCheckILm3ElEESC_Lm3ESD_lEENS8_INS9_ISB_KSC_Lm2ESD_lEESH_SJ_Lm3ESD_lEEiii
		.amdhsa_group_segment_fixed_size 0
		.amdhsa_private_segment_fixed_size 0
		.amdhsa_kernarg_size 384
		.amdhsa_user_sgpr_count 13
		.amdhsa_user_sgpr_dispatch_ptr 0
		.amdhsa_user_sgpr_queue_ptr 0
		.amdhsa_user_sgpr_kernarg_segment_ptr 1
		.amdhsa_user_sgpr_dispatch_id 0
		.amdhsa_user_sgpr_private_segment_size 0
		.amdhsa_wavefront_size32 1
		.amdhsa_uses_dynamic_stack 0
		.amdhsa_enable_private_segment 0
		.amdhsa_system_sgpr_workgroup_id_x 1
		.amdhsa_system_sgpr_workgroup_id_y 1
		.amdhsa_system_sgpr_workgroup_id_z 1
		.amdhsa_system_sgpr_workgroup_info 0
		.amdhsa_system_vgpr_workitem_id 0
		.amdhsa_next_free_vgpr 11
		.amdhsa_next_free_sgpr 24
		.amdhsa_reserve_vcc 1
		.amdhsa_float_round_mode_32 0
		.amdhsa_float_round_mode_16_64 0
		.amdhsa_float_denorm_mode_32 3
		.amdhsa_float_denorm_mode_16_64 3
		.amdhsa_dx10_clamp 1
		.amdhsa_ieee_mode 1
		.amdhsa_fp16_overflow 0
		.amdhsa_workgroup_processor_mode 1
		.amdhsa_memory_ordered 1
		.amdhsa_forward_progress 0
		.amdhsa_shared_vgpr_count 0
		.amdhsa_exception_fp_ieee_invalid_op 0
		.amdhsa_exception_fp_denorm_src 0
		.amdhsa_exception_fp_ieee_div_zero 0
		.amdhsa_exception_fp_ieee_overflow 0
		.amdhsa_exception_fp_ieee_underflow 0
		.amdhsa_exception_fp_ieee_inexact 0
		.amdhsa_exception_int_div_zero 0
	.end_amdhsa_kernel
	.section	.text._ZN2at6native12_GLOBAL__N_131replication_pad_backward_kernelIN3c108BFloat16EEEvN5torch10headeronly6detail27GenericPackedTensorAccessorINS7_14TensorAccessorINS3_8ArrayRefIlEET_Lm2ENS6_16DefaultPtrTraitsElEENS_6detail16IndexBoundsCheckILm3ElEESC_Lm3ESD_lEENS8_INS9_ISB_KSC_Lm2ESD_lEESH_SJ_Lm3ESD_lEEiii,"axG",@progbits,_ZN2at6native12_GLOBAL__N_131replication_pad_backward_kernelIN3c108BFloat16EEEvN5torch10headeronly6detail27GenericPackedTensorAccessorINS7_14TensorAccessorINS3_8ArrayRefIlEET_Lm2ENS6_16DefaultPtrTraitsElEENS_6detail16IndexBoundsCheckILm3ElEESC_Lm3ESD_lEENS8_INS9_ISB_KSC_Lm2ESD_lEESH_SJ_Lm3ESD_lEEiii,comdat
.Lfunc_end28:
	.size	_ZN2at6native12_GLOBAL__N_131replication_pad_backward_kernelIN3c108BFloat16EEEvN5torch10headeronly6detail27GenericPackedTensorAccessorINS7_14TensorAccessorINS3_8ArrayRefIlEET_Lm2ENS6_16DefaultPtrTraitsElEENS_6detail16IndexBoundsCheckILm3ElEESC_Lm3ESD_lEENS8_INS9_ISB_KSC_Lm2ESD_lEESH_SJ_Lm3ESD_lEEiii, .Lfunc_end28-_ZN2at6native12_GLOBAL__N_131replication_pad_backward_kernelIN3c108BFloat16EEEvN5torch10headeronly6detail27GenericPackedTensorAccessorINS7_14TensorAccessorINS3_8ArrayRefIlEET_Lm2ENS6_16DefaultPtrTraitsElEENS_6detail16IndexBoundsCheckILm3ElEESC_Lm3ESD_lEENS8_INS9_ISB_KSC_Lm2ESD_lEESH_SJ_Lm3ESD_lEEiii
                                        ; -- End function
	.section	.AMDGPU.csdata,"",@progbits
; Kernel info:
; codeLenInByte = 1556
; NumSgprs: 26
; NumVgprs: 11
; ScratchSize: 0
; MemoryBound: 0
; FloatMode: 240
; IeeeMode: 1
; LDSByteSize: 0 bytes/workgroup (compile time only)
; SGPRBlocks: 3
; VGPRBlocks: 1
; NumSGPRsForWavesPerEU: 26
; NumVGPRsForWavesPerEU: 11
; Occupancy: 16
; WaveLimiterHint : 1
; COMPUTE_PGM_RSRC2:SCRATCH_EN: 0
; COMPUTE_PGM_RSRC2:USER_SGPR: 13
; COMPUTE_PGM_RSRC2:TRAP_HANDLER: 0
; COMPUTE_PGM_RSRC2:TGID_X_EN: 1
; COMPUTE_PGM_RSRC2:TGID_Y_EN: 1
; COMPUTE_PGM_RSRC2:TGID_Z_EN: 1
; COMPUTE_PGM_RSRC2:TIDIG_COMP_CNT: 0
	.section	.text._ZN2at6native12_GLOBAL__N_132replication_pad_forward_kernel2dIhEEvN5torch10headeronly6detail27GenericPackedTensorAccessorINS5_14TensorAccessorIN3c108ArrayRefIlEEKT_Lm3ENS4_16DefaultPtrTraitsElEENS_6detail16IndexBoundsCheckILm4ElEESC_Lm4ESD_lEENS6_INS7_ISA_SB_Lm3ESD_lEESH_SB_Lm4ESD_lEEiiii,"axG",@progbits,_ZN2at6native12_GLOBAL__N_132replication_pad_forward_kernel2dIhEEvN5torch10headeronly6detail27GenericPackedTensorAccessorINS5_14TensorAccessorIN3c108ArrayRefIlEEKT_Lm3ENS4_16DefaultPtrTraitsElEENS_6detail16IndexBoundsCheckILm4ElEESC_Lm4ESD_lEENS6_INS7_ISA_SB_Lm3ESD_lEESH_SB_Lm4ESD_lEEiiii,comdat
	.globl	_ZN2at6native12_GLOBAL__N_132replication_pad_forward_kernel2dIhEEvN5torch10headeronly6detail27GenericPackedTensorAccessorINS5_14TensorAccessorIN3c108ArrayRefIlEEKT_Lm3ENS4_16DefaultPtrTraitsElEENS_6detail16IndexBoundsCheckILm4ElEESC_Lm4ESD_lEENS6_INS7_ISA_SB_Lm3ESD_lEESH_SB_Lm4ESD_lEEiiii ; -- Begin function _ZN2at6native12_GLOBAL__N_132replication_pad_forward_kernel2dIhEEvN5torch10headeronly6detail27GenericPackedTensorAccessorINS5_14TensorAccessorIN3c108ArrayRefIlEEKT_Lm3ENS4_16DefaultPtrTraitsElEENS_6detail16IndexBoundsCheckILm4ElEESC_Lm4ESD_lEENS6_INS7_ISA_SB_Lm3ESD_lEESH_SB_Lm4ESD_lEEiiii
	.p2align	8
	.type	_ZN2at6native12_GLOBAL__N_132replication_pad_forward_kernel2dIhEEvN5torch10headeronly6detail27GenericPackedTensorAccessorINS5_14TensorAccessorIN3c108ArrayRefIlEEKT_Lm3ENS4_16DefaultPtrTraitsElEENS_6detail16IndexBoundsCheckILm4ElEESC_Lm4ESD_lEENS6_INS7_ISA_SB_Lm3ESD_lEESH_SB_Lm4ESD_lEEiiii,@function
_ZN2at6native12_GLOBAL__N_132replication_pad_forward_kernel2dIhEEvN5torch10headeronly6detail27GenericPackedTensorAccessorINS5_14TensorAccessorIN3c108ArrayRefIlEEKT_Lm3ENS4_16DefaultPtrTraitsElEENS_6detail16IndexBoundsCheckILm4ElEESC_Lm4ESD_lEENS6_INS7_ISA_SB_Lm3ESD_lEESH_SB_Lm4ESD_lEEiiii: ; @_ZN2at6native12_GLOBAL__N_132replication_pad_forward_kernel2dIhEEvN5torch10headeronly6detail27GenericPackedTensorAccessorINS5_14TensorAccessorIN3c108ArrayRefIlEEKT_Lm3ENS4_16DefaultPtrTraitsElEENS_6detail16IndexBoundsCheckILm4ElEESC_Lm4ESD_lEENS6_INS7_ISA_SB_Lm3ESD_lEESH_SB_Lm4ESD_lEEiiii
; %bb.0:
	s_clause 0x1
	s_load_b32 s2, s[0:1], 0xac
	s_load_b128 s[4:7], s[0:1], 0x60
	s_waitcnt lgkmcnt(0)
	s_and_b32 s2, s2, 0xffff
	s_mul_hi_u32 s3, s6, s4
	v_mad_u64_u32 v[1:2], null, s13, s2, v[0:1]
	s_mul_i32 s2, s6, s5
	s_delay_alu instid0(SALU_CYCLE_1) | instskip(SKIP_1) | instid1(SALU_CYCLE_1)
	s_add_i32 s2, s3, s2
	s_mul_i32 s3, s7, s4
	s_add_i32 s3, s2, s3
	s_delay_alu instid0(VALU_DEP_1)
	v_ashrrev_i32_e32 v2, 31, v1
	s_mul_i32 s2, s6, s4
	s_delay_alu instid0(VALU_DEP_1) | instid1(SALU_CYCLE_1)
	v_cmp_gt_i64_e32 vcc_lo, s[2:3], v[1:2]
	s_and_saveexec_b32 s2, vcc_lo
	s_cbranch_execz .LBB29_6
; %bb.1:
	v_or_b32_e32 v4, s7, v2
	v_mov_b32_e32 v3, 0
	s_delay_alu instid0(VALU_DEP_1) | instskip(SKIP_1) | instid1(SALU_CYCLE_1)
	v_cmp_ne_u64_e32 vcc_lo, 0, v[3:4]
                                        ; implicit-def: $vgpr3_vgpr4
	s_and_saveexec_b32 s2, vcc_lo
	s_xor_b32 s3, exec_lo, s2
	s_cbranch_execz .LBB29_3
; %bb.2:
	s_ashr_i32 s4, s7, 31
	s_delay_alu instid0(SALU_CYCLE_1) | instskip(SKIP_2) | instid1(SALU_CYCLE_1)
	s_add_u32 s8, s6, s4
	s_mov_b32 s5, s4
	s_addc_u32 s9, s7, s4
	s_xor_b64 s[8:9], s[8:9], s[4:5]
	s_delay_alu instid0(SALU_CYCLE_1) | instskip(SKIP_3) | instid1(VALU_DEP_1)
	v_cvt_f32_u32_e32 v0, s8
	v_cvt_f32_u32_e32 v3, s9
	s_sub_u32 s2, 0, s8
	s_subb_u32 s5, 0, s9
	v_fmamk_f32 v0, v3, 0x4f800000, v0
	s_delay_alu instid0(VALU_DEP_1) | instskip(SKIP_2) | instid1(VALU_DEP_1)
	v_rcp_f32_e32 v0, v0
	s_waitcnt_depctr 0xfff
	v_mul_f32_e32 v0, 0x5f7ffffc, v0
	v_mul_f32_e32 v3, 0x2f800000, v0
	s_delay_alu instid0(VALU_DEP_1) | instskip(NEXT) | instid1(VALU_DEP_1)
	v_trunc_f32_e32 v3, v3
	v_fmamk_f32 v0, v3, 0xcf800000, v0
	v_cvt_u32_f32_e32 v3, v3
	s_delay_alu instid0(VALU_DEP_2) | instskip(NEXT) | instid1(VALU_DEP_2)
	v_cvt_u32_f32_e32 v0, v0
	v_mul_lo_u32 v4, s2, v3
	s_delay_alu instid0(VALU_DEP_2) | instskip(SKIP_1) | instid1(VALU_DEP_2)
	v_mul_hi_u32 v5, s2, v0
	v_mul_lo_u32 v6, s5, v0
	v_add_nc_u32_e32 v4, v5, v4
	v_mul_lo_u32 v5, s2, v0
	s_delay_alu instid0(VALU_DEP_2) | instskip(NEXT) | instid1(VALU_DEP_2)
	v_add_nc_u32_e32 v4, v4, v6
	v_mul_hi_u32 v6, v0, v5
	s_delay_alu instid0(VALU_DEP_2)
	v_mul_lo_u32 v7, v0, v4
	v_mul_hi_u32 v8, v0, v4
	v_mul_hi_u32 v9, v3, v5
	v_mul_lo_u32 v5, v3, v5
	v_mul_hi_u32 v10, v3, v4
	v_mul_lo_u32 v4, v3, v4
	v_add_co_u32 v6, vcc_lo, v6, v7
	v_add_co_ci_u32_e32 v7, vcc_lo, 0, v8, vcc_lo
	s_delay_alu instid0(VALU_DEP_2) | instskip(NEXT) | instid1(VALU_DEP_2)
	v_add_co_u32 v5, vcc_lo, v6, v5
	v_add_co_ci_u32_e32 v5, vcc_lo, v7, v9, vcc_lo
	v_add_co_ci_u32_e32 v6, vcc_lo, 0, v10, vcc_lo
	v_ashrrev_i32_e32 v9, 31, v2
	s_delay_alu instid0(VALU_DEP_3) | instskip(NEXT) | instid1(VALU_DEP_3)
	v_add_co_u32 v4, vcc_lo, v5, v4
	v_add_co_ci_u32_e32 v5, vcc_lo, 0, v6, vcc_lo
	s_delay_alu instid0(VALU_DEP_2) | instskip(NEXT) | instid1(VALU_DEP_2)
	v_add_co_u32 v0, vcc_lo, v0, v4
	v_add_co_ci_u32_e32 v3, vcc_lo, v3, v5, vcc_lo
	s_delay_alu instid0(VALU_DEP_2) | instskip(SKIP_1) | instid1(VALU_DEP_3)
	v_mul_hi_u32 v4, s2, v0
	v_mul_lo_u32 v6, s5, v0
	v_mul_lo_u32 v5, s2, v3
	s_delay_alu instid0(VALU_DEP_1) | instskip(SKIP_1) | instid1(VALU_DEP_2)
	v_add_nc_u32_e32 v4, v4, v5
	v_mul_lo_u32 v5, s2, v0
	v_add_nc_u32_e32 v4, v4, v6
	s_delay_alu instid0(VALU_DEP_2) | instskip(NEXT) | instid1(VALU_DEP_2)
	v_mul_hi_u32 v6, v0, v5
	v_mul_lo_u32 v7, v0, v4
	v_mul_hi_u32 v8, v0, v4
	v_mul_hi_u32 v10, v3, v5
	v_mul_lo_u32 v5, v3, v5
	v_mul_hi_u32 v11, v3, v4
	v_mul_lo_u32 v4, v3, v4
	v_add_co_u32 v6, vcc_lo, v6, v7
	v_add_co_ci_u32_e32 v7, vcc_lo, 0, v8, vcc_lo
	s_delay_alu instid0(VALU_DEP_2) | instskip(NEXT) | instid1(VALU_DEP_2)
	v_add_co_u32 v5, vcc_lo, v6, v5
	v_add_co_ci_u32_e32 v5, vcc_lo, v7, v10, vcc_lo
	v_add_co_ci_u32_e32 v6, vcc_lo, 0, v11, vcc_lo
	v_add_co_u32 v7, vcc_lo, v1, v9
	v_add_co_ci_u32_e32 v8, vcc_lo, v2, v9, vcc_lo
	s_delay_alu instid0(VALU_DEP_4) | instskip(NEXT) | instid1(VALU_DEP_4)
	v_add_co_u32 v4, vcc_lo, v5, v4
	v_add_co_ci_u32_e32 v5, vcc_lo, 0, v6, vcc_lo
	s_delay_alu instid0(VALU_DEP_4) | instskip(NEXT) | instid1(VALU_DEP_3)
	v_xor_b32_e32 v10, v7, v9
	v_add_co_u32 v0, vcc_lo, v0, v4
	s_delay_alu instid0(VALU_DEP_3) | instskip(SKIP_1) | instid1(VALU_DEP_3)
	v_add_co_ci_u32_e32 v11, vcc_lo, v3, v5, vcc_lo
	v_xor_b32_e32 v12, v8, v9
	v_mul_hi_u32 v13, v10, v0
	s_delay_alu instid0(VALU_DEP_3) | instskip(NEXT) | instid1(VALU_DEP_3)
	v_mad_u64_u32 v[3:4], null, v10, v11, 0
	v_mad_u64_u32 v[5:6], null, v12, v0, 0
	;; [unrolled: 1-line block ×3, first 2 shown]
	s_delay_alu instid0(VALU_DEP_3) | instskip(NEXT) | instid1(VALU_DEP_4)
	v_add_co_u32 v0, vcc_lo, v13, v3
	v_add_co_ci_u32_e32 v3, vcc_lo, 0, v4, vcc_lo
	s_delay_alu instid0(VALU_DEP_2) | instskip(NEXT) | instid1(VALU_DEP_2)
	v_add_co_u32 v0, vcc_lo, v0, v5
	v_add_co_ci_u32_e32 v0, vcc_lo, v3, v6, vcc_lo
	v_add_co_ci_u32_e32 v3, vcc_lo, 0, v8, vcc_lo
	s_delay_alu instid0(VALU_DEP_2) | instskip(NEXT) | instid1(VALU_DEP_2)
	v_add_co_u32 v0, vcc_lo, v0, v7
	v_add_co_ci_u32_e32 v5, vcc_lo, 0, v3, vcc_lo
	s_delay_alu instid0(VALU_DEP_2) | instskip(SKIP_1) | instid1(VALU_DEP_3)
	v_mul_lo_u32 v6, s9, v0
	v_mad_u64_u32 v[3:4], null, s8, v0, 0
	v_mul_lo_u32 v7, s8, v5
	s_delay_alu instid0(VALU_DEP_2) | instskip(NEXT) | instid1(VALU_DEP_2)
	v_sub_co_u32 v3, vcc_lo, v10, v3
	v_add3_u32 v4, v4, v7, v6
	s_delay_alu instid0(VALU_DEP_1) | instskip(NEXT) | instid1(VALU_DEP_1)
	v_sub_nc_u32_e32 v6, v12, v4
	v_subrev_co_ci_u32_e64 v6, s2, s9, v6, vcc_lo
	v_add_co_u32 v7, s2, v0, 2
	s_delay_alu instid0(VALU_DEP_1) | instskip(SKIP_3) | instid1(VALU_DEP_3)
	v_add_co_ci_u32_e64 v8, s2, 0, v5, s2
	v_sub_co_u32 v10, s2, v3, s8
	v_sub_co_ci_u32_e32 v4, vcc_lo, v12, v4, vcc_lo
	v_subrev_co_ci_u32_e64 v6, s2, 0, v6, s2
	v_cmp_le_u32_e32 vcc_lo, s8, v10
	s_delay_alu instid0(VALU_DEP_3) | instskip(SKIP_1) | instid1(VALU_DEP_4)
	v_cmp_eq_u32_e64 s2, s9, v4
	v_cndmask_b32_e64 v10, 0, -1, vcc_lo
	v_cmp_le_u32_e32 vcc_lo, s9, v6
	v_cndmask_b32_e64 v11, 0, -1, vcc_lo
	v_cmp_le_u32_e32 vcc_lo, s8, v3
	;; [unrolled: 2-line block ×3, first 2 shown]
	v_cndmask_b32_e64 v12, 0, -1, vcc_lo
	v_cmp_eq_u32_e32 vcc_lo, s9, v6
	s_delay_alu instid0(VALU_DEP_2) | instskip(SKIP_3) | instid1(VALU_DEP_3)
	v_cndmask_b32_e64 v3, v12, v3, s2
	v_cndmask_b32_e32 v6, v11, v10, vcc_lo
	v_add_co_u32 v10, vcc_lo, v0, 1
	v_add_co_ci_u32_e32 v11, vcc_lo, 0, v5, vcc_lo
	v_cmp_ne_u32_e32 vcc_lo, 0, v6
	s_delay_alu instid0(VALU_DEP_2) | instskip(NEXT) | instid1(VALU_DEP_4)
	v_cndmask_b32_e32 v4, v11, v8, vcc_lo
	v_cndmask_b32_e32 v6, v10, v7, vcc_lo
	v_cmp_ne_u32_e32 vcc_lo, 0, v3
	v_xor_b32_e32 v7, s4, v9
	s_delay_alu instid0(VALU_DEP_3) | instskip(NEXT) | instid1(VALU_DEP_1)
	v_dual_cndmask_b32 v0, v0, v6 :: v_dual_cndmask_b32 v3, v5, v4
	v_xor_b32_e32 v0, v0, v7
	s_delay_alu instid0(VALU_DEP_2) | instskip(NEXT) | instid1(VALU_DEP_2)
	v_xor_b32_e32 v4, v3, v7
	v_sub_co_u32 v3, vcc_lo, v0, v7
	s_delay_alu instid0(VALU_DEP_2)
	v_sub_co_ci_u32_e32 v4, vcc_lo, v4, v7, vcc_lo
.LBB29_3:
	s_and_not1_saveexec_b32 s2, s3
	s_cbranch_execz .LBB29_5
; %bb.4:
	v_cvt_f32_u32_e32 v0, s6
	s_sub_i32 s3, 0, s6
	s_delay_alu instid0(VALU_DEP_1) | instskip(SKIP_2) | instid1(VALU_DEP_1)
	v_rcp_iflag_f32_e32 v0, v0
	s_waitcnt_depctr 0xfff
	v_mul_f32_e32 v0, 0x4f7ffffe, v0
	v_cvt_u32_f32_e32 v0, v0
	s_delay_alu instid0(VALU_DEP_1) | instskip(NEXT) | instid1(VALU_DEP_1)
	v_mul_lo_u32 v3, s3, v0
	v_mul_hi_u32 v3, v0, v3
	s_delay_alu instid0(VALU_DEP_1) | instskip(NEXT) | instid1(VALU_DEP_1)
	v_add_nc_u32_e32 v0, v0, v3
	v_mul_hi_u32 v0, v1, v0
	s_delay_alu instid0(VALU_DEP_1) | instskip(SKIP_1) | instid1(VALU_DEP_2)
	v_mul_lo_u32 v3, v0, s6
	v_add_nc_u32_e32 v4, 1, v0
	v_sub_nc_u32_e32 v3, v1, v3
	s_delay_alu instid0(VALU_DEP_1) | instskip(SKIP_1) | instid1(VALU_DEP_2)
	v_subrev_nc_u32_e32 v5, s6, v3
	v_cmp_le_u32_e32 vcc_lo, s6, v3
	v_dual_cndmask_b32 v3, v3, v5 :: v_dual_cndmask_b32 v0, v0, v4
	s_delay_alu instid0(VALU_DEP_1) | instskip(NEXT) | instid1(VALU_DEP_2)
	v_cmp_le_u32_e32 vcc_lo, s6, v3
	v_add_nc_u32_e32 v4, 1, v0
	s_delay_alu instid0(VALU_DEP_1)
	v_dual_cndmask_b32 v3, v0, v4 :: v_dual_mov_b32 v4, 0
.LBB29_5:
	s_or_b32 exec_lo, exec_lo, s2
	s_clause 0x1
	s_load_b128 s[20:23], s[0:1], 0x90
	s_load_b128 s[16:19], s[0:1], 0x38
	v_mul_lo_u32 v0, v4, s6
	v_mul_lo_u32 v6, v3, s7
	v_mad_u64_u32 v[4:5], null, v3, s6, 0
	s_clause 0x1
	s_load_b256 s[4:11], s[0:1], 0x18
	s_load_b64 s[2:3], s[0:1], 0x0
	s_delay_alu instid0(VALU_DEP_1) | instskip(NEXT) | instid1(VALU_DEP_2)
	v_add3_u32 v0, v5, v6, v0
	v_sub_co_u32 v6, vcc_lo, v1, v4
	s_delay_alu instid0(VALU_DEP_2)
	v_sub_co_ci_u32_e32 v7, vcc_lo, v2, v0, vcc_lo
	s_waitcnt lgkmcnt(0)
	s_sub_i32 s5, 0, s21
	s_add_i32 s15, s15, s23
	s_max_i32 s12, s21, 0
	s_max_i32 s5, s5, 0
	s_sub_i32 s7, 0, s20
	s_add_i32 s4, s20, s4
	s_sub_i32 s5, s5, s12
	s_add_i32 s4, s4, -1
	s_ashr_i32 s12, s15, 31
	s_max_i32 s13, s20, 0
	v_maxmin_i32 v0, s20, v3, s4
	s_mul_i32 s4, s8, s12
	s_mul_hi_u32 s20, s8, s15
	s_add_i32 s6, s21, s6
	s_max_i32 s7, s7, 0
	s_add_i32 s4, s20, s4
	s_mul_i32 s9, s9, s15
	s_mul_i32 s8, s8, s15
	s_add_i32 s14, s14, s22
	s_add_i32 s6, s6, -1
	s_sub_i32 s7, s7, s13
	s_add_i32 s4, s4, s9
	s_add_u32 s2, s2, s8
	s_addc_u32 s3, s3, s4
	s_ashr_i32 s13, s14, 31
	v_add_nc_u32_e32 v2, s7, v0
	s_mul_i32 s4, s10, s13
	s_mul_hi_u32 s7, s10, s14
	v_maxmin_i32 v4, s21, v6, s6
	s_add_i32 s4, s7, s4
	s_mul_i32 s6, s11, s14
	v_ashrrev_i32_e32 v0, 31, v2
	s_mul_i32 s7, s10, s14
	s_add_i32 s4, s4, s6
	s_add_u32 s2, s2, s7
	s_addc_u32 s3, s3, s4
	v_mul_lo_u32 v5, s16, v0
	v_mad_u64_u32 v[0:1], null, s16, v2, s[2:3]
	v_mul_lo_u32 v2, s17, v2
	v_add_nc_u32_e32 v8, s5, v4
	s_delay_alu instid0(VALU_DEP_1) | instskip(NEXT) | instid1(VALU_DEP_3)
	v_ashrrev_i32_e32 v4, 31, v8
	v_add3_u32 v1, v2, v1, v5
	s_delay_alu instid0(VALU_DEP_2) | instskip(NEXT) | instid1(VALU_DEP_2)
	v_mul_lo_u32 v2, s18, v4
	v_mad_u64_u32 v[4:5], null, s18, v8, v[0:1]
	v_mul_lo_u32 v0, s19, v8
	s_delay_alu instid0(VALU_DEP_1)
	v_add3_u32 v5, v0, v5, v2
	v_ashrrev_i32_e32 v2, 31, v3
	global_load_u8 v4, v[4:5], off
	s_clause 0x1
	s_load_b256 s[4:11], s[0:1], 0x70
	s_load_b64 s[0:1], s[0:1], 0x48
	s_waitcnt lgkmcnt(0)
	s_mul_i32 s2, s4, s12
	s_mul_hi_u32 s3, s4, s15
	s_mul_i32 s4, s4, s15
	s_add_i32 s2, s3, s2
	s_mul_i32 s3, s5, s15
	v_mul_lo_u32 v2, s8, v2
	s_add_i32 s2, s2, s3
	s_add_u32 s0, s0, s4
	s_mul_i32 s3, s6, s13
	s_mul_hi_u32 s4, s6, s14
	s_addc_u32 s1, s1, s2
	s_add_i32 s2, s4, s3
	s_mul_i32 s3, s7, s14
	s_mul_i32 s4, s6, s14
	s_add_i32 s2, s2, s3
	s_add_u32 s0, s0, s4
	s_addc_u32 s1, s1, s2
	s_delay_alu instid0(SALU_CYCLE_1) | instskip(SKIP_1) | instid1(VALU_DEP_1)
	v_mad_u64_u32 v[0:1], null, s8, v3, s[0:1]
	v_mul_lo_u32 v3, s9, v3
	v_add3_u32 v1, v3, v1, v2
	s_delay_alu instid0(VALU_DEP_1) | instskip(SKIP_2) | instid1(VALU_DEP_1)
	v_mad_u64_u32 v[2:3], null, s10, v6, v[0:1]
	v_mul_lo_u32 v0, s10, v7
	v_mul_lo_u32 v1, s11, v6
	v_add3_u32 v3, v1, v3, v0
	s_waitcnt vmcnt(0)
	global_store_b8 v[2:3], v4, off
.LBB29_6:
	s_nop 0
	s_sendmsg sendmsg(MSG_DEALLOC_VGPRS)
	s_endpgm
	.section	.rodata,"a",@progbits
	.p2align	6, 0x0
	.amdhsa_kernel _ZN2at6native12_GLOBAL__N_132replication_pad_forward_kernel2dIhEEvN5torch10headeronly6detail27GenericPackedTensorAccessorINS5_14TensorAccessorIN3c108ArrayRefIlEEKT_Lm3ENS4_16DefaultPtrTraitsElEENS_6detail16IndexBoundsCheckILm4ElEESC_Lm4ESD_lEENS6_INS7_ISA_SB_Lm3ESD_lEESH_SB_Lm4ESD_lEEiiii
		.amdhsa_group_segment_fixed_size 0
		.amdhsa_private_segment_fixed_size 0
		.amdhsa_kernarg_size 416
		.amdhsa_user_sgpr_count 13
		.amdhsa_user_sgpr_dispatch_ptr 0
		.amdhsa_user_sgpr_queue_ptr 0
		.amdhsa_user_sgpr_kernarg_segment_ptr 1
		.amdhsa_user_sgpr_dispatch_id 0
		.amdhsa_user_sgpr_private_segment_size 0
		.amdhsa_wavefront_size32 1
		.amdhsa_uses_dynamic_stack 0
		.amdhsa_enable_private_segment 0
		.amdhsa_system_sgpr_workgroup_id_x 1
		.amdhsa_system_sgpr_workgroup_id_y 1
		.amdhsa_system_sgpr_workgroup_id_z 1
		.amdhsa_system_sgpr_workgroup_info 0
		.amdhsa_system_vgpr_workitem_id 0
		.amdhsa_next_free_vgpr 14
		.amdhsa_next_free_sgpr 24
		.amdhsa_reserve_vcc 1
		.amdhsa_float_round_mode_32 0
		.amdhsa_float_round_mode_16_64 0
		.amdhsa_float_denorm_mode_32 3
		.amdhsa_float_denorm_mode_16_64 3
		.amdhsa_dx10_clamp 1
		.amdhsa_ieee_mode 1
		.amdhsa_fp16_overflow 0
		.amdhsa_workgroup_processor_mode 1
		.amdhsa_memory_ordered 1
		.amdhsa_forward_progress 0
		.amdhsa_shared_vgpr_count 0
		.amdhsa_exception_fp_ieee_invalid_op 0
		.amdhsa_exception_fp_denorm_src 0
		.amdhsa_exception_fp_ieee_div_zero 0
		.amdhsa_exception_fp_ieee_overflow 0
		.amdhsa_exception_fp_ieee_underflow 0
		.amdhsa_exception_fp_ieee_inexact 0
		.amdhsa_exception_int_div_zero 0
	.end_amdhsa_kernel
	.section	.text._ZN2at6native12_GLOBAL__N_132replication_pad_forward_kernel2dIhEEvN5torch10headeronly6detail27GenericPackedTensorAccessorINS5_14TensorAccessorIN3c108ArrayRefIlEEKT_Lm3ENS4_16DefaultPtrTraitsElEENS_6detail16IndexBoundsCheckILm4ElEESC_Lm4ESD_lEENS6_INS7_ISA_SB_Lm3ESD_lEESH_SB_Lm4ESD_lEEiiii,"axG",@progbits,_ZN2at6native12_GLOBAL__N_132replication_pad_forward_kernel2dIhEEvN5torch10headeronly6detail27GenericPackedTensorAccessorINS5_14TensorAccessorIN3c108ArrayRefIlEEKT_Lm3ENS4_16DefaultPtrTraitsElEENS_6detail16IndexBoundsCheckILm4ElEESC_Lm4ESD_lEENS6_INS7_ISA_SB_Lm3ESD_lEESH_SB_Lm4ESD_lEEiiii,comdat
.Lfunc_end29:
	.size	_ZN2at6native12_GLOBAL__N_132replication_pad_forward_kernel2dIhEEvN5torch10headeronly6detail27GenericPackedTensorAccessorINS5_14TensorAccessorIN3c108ArrayRefIlEEKT_Lm3ENS4_16DefaultPtrTraitsElEENS_6detail16IndexBoundsCheckILm4ElEESC_Lm4ESD_lEENS6_INS7_ISA_SB_Lm3ESD_lEESH_SB_Lm4ESD_lEEiiii, .Lfunc_end29-_ZN2at6native12_GLOBAL__N_132replication_pad_forward_kernel2dIhEEvN5torch10headeronly6detail27GenericPackedTensorAccessorINS5_14TensorAccessorIN3c108ArrayRefIlEEKT_Lm3ENS4_16DefaultPtrTraitsElEENS_6detail16IndexBoundsCheckILm4ElEESC_Lm4ESD_lEENS6_INS7_ISA_SB_Lm3ESD_lEESH_SB_Lm4ESD_lEEiiii
                                        ; -- End function
	.section	.AMDGPU.csdata,"",@progbits
; Kernel info:
; codeLenInByte = 1620
; NumSgprs: 26
; NumVgprs: 14
; ScratchSize: 0
; MemoryBound: 0
; FloatMode: 240
; IeeeMode: 1
; LDSByteSize: 0 bytes/workgroup (compile time only)
; SGPRBlocks: 3
; VGPRBlocks: 1
; NumSGPRsForWavesPerEU: 26
; NumVGPRsForWavesPerEU: 14
; Occupancy: 16
; WaveLimiterHint : 1
; COMPUTE_PGM_RSRC2:SCRATCH_EN: 0
; COMPUTE_PGM_RSRC2:USER_SGPR: 13
; COMPUTE_PGM_RSRC2:TRAP_HANDLER: 0
; COMPUTE_PGM_RSRC2:TGID_X_EN: 1
; COMPUTE_PGM_RSRC2:TGID_Y_EN: 1
; COMPUTE_PGM_RSRC2:TGID_Z_EN: 1
; COMPUTE_PGM_RSRC2:TIDIG_COMP_CNT: 0
	.section	.text._ZN2at6native12_GLOBAL__N_132replication_pad_forward_kernel2dIaEEvN5torch10headeronly6detail27GenericPackedTensorAccessorINS5_14TensorAccessorIN3c108ArrayRefIlEEKT_Lm3ENS4_16DefaultPtrTraitsElEENS_6detail16IndexBoundsCheckILm4ElEESC_Lm4ESD_lEENS6_INS7_ISA_SB_Lm3ESD_lEESH_SB_Lm4ESD_lEEiiii,"axG",@progbits,_ZN2at6native12_GLOBAL__N_132replication_pad_forward_kernel2dIaEEvN5torch10headeronly6detail27GenericPackedTensorAccessorINS5_14TensorAccessorIN3c108ArrayRefIlEEKT_Lm3ENS4_16DefaultPtrTraitsElEENS_6detail16IndexBoundsCheckILm4ElEESC_Lm4ESD_lEENS6_INS7_ISA_SB_Lm3ESD_lEESH_SB_Lm4ESD_lEEiiii,comdat
	.globl	_ZN2at6native12_GLOBAL__N_132replication_pad_forward_kernel2dIaEEvN5torch10headeronly6detail27GenericPackedTensorAccessorINS5_14TensorAccessorIN3c108ArrayRefIlEEKT_Lm3ENS4_16DefaultPtrTraitsElEENS_6detail16IndexBoundsCheckILm4ElEESC_Lm4ESD_lEENS6_INS7_ISA_SB_Lm3ESD_lEESH_SB_Lm4ESD_lEEiiii ; -- Begin function _ZN2at6native12_GLOBAL__N_132replication_pad_forward_kernel2dIaEEvN5torch10headeronly6detail27GenericPackedTensorAccessorINS5_14TensorAccessorIN3c108ArrayRefIlEEKT_Lm3ENS4_16DefaultPtrTraitsElEENS_6detail16IndexBoundsCheckILm4ElEESC_Lm4ESD_lEENS6_INS7_ISA_SB_Lm3ESD_lEESH_SB_Lm4ESD_lEEiiii
	.p2align	8
	.type	_ZN2at6native12_GLOBAL__N_132replication_pad_forward_kernel2dIaEEvN5torch10headeronly6detail27GenericPackedTensorAccessorINS5_14TensorAccessorIN3c108ArrayRefIlEEKT_Lm3ENS4_16DefaultPtrTraitsElEENS_6detail16IndexBoundsCheckILm4ElEESC_Lm4ESD_lEENS6_INS7_ISA_SB_Lm3ESD_lEESH_SB_Lm4ESD_lEEiiii,@function
_ZN2at6native12_GLOBAL__N_132replication_pad_forward_kernel2dIaEEvN5torch10headeronly6detail27GenericPackedTensorAccessorINS5_14TensorAccessorIN3c108ArrayRefIlEEKT_Lm3ENS4_16DefaultPtrTraitsElEENS_6detail16IndexBoundsCheckILm4ElEESC_Lm4ESD_lEENS6_INS7_ISA_SB_Lm3ESD_lEESH_SB_Lm4ESD_lEEiiii: ; @_ZN2at6native12_GLOBAL__N_132replication_pad_forward_kernel2dIaEEvN5torch10headeronly6detail27GenericPackedTensorAccessorINS5_14TensorAccessorIN3c108ArrayRefIlEEKT_Lm3ENS4_16DefaultPtrTraitsElEENS_6detail16IndexBoundsCheckILm4ElEESC_Lm4ESD_lEENS6_INS7_ISA_SB_Lm3ESD_lEESH_SB_Lm4ESD_lEEiiii
; %bb.0:
	s_clause 0x1
	s_load_b32 s2, s[0:1], 0xac
	s_load_b128 s[4:7], s[0:1], 0x60
	s_waitcnt lgkmcnt(0)
	s_and_b32 s2, s2, 0xffff
	s_mul_hi_u32 s3, s6, s4
	v_mad_u64_u32 v[1:2], null, s13, s2, v[0:1]
	s_mul_i32 s2, s6, s5
	s_delay_alu instid0(SALU_CYCLE_1) | instskip(SKIP_1) | instid1(SALU_CYCLE_1)
	s_add_i32 s2, s3, s2
	s_mul_i32 s3, s7, s4
	s_add_i32 s3, s2, s3
	s_delay_alu instid0(VALU_DEP_1)
	v_ashrrev_i32_e32 v2, 31, v1
	s_mul_i32 s2, s6, s4
	s_delay_alu instid0(VALU_DEP_1) | instid1(SALU_CYCLE_1)
	v_cmp_gt_i64_e32 vcc_lo, s[2:3], v[1:2]
	s_and_saveexec_b32 s2, vcc_lo
	s_cbranch_execz .LBB30_6
; %bb.1:
	v_or_b32_e32 v4, s7, v2
	v_mov_b32_e32 v3, 0
	s_delay_alu instid0(VALU_DEP_1) | instskip(SKIP_1) | instid1(SALU_CYCLE_1)
	v_cmp_ne_u64_e32 vcc_lo, 0, v[3:4]
                                        ; implicit-def: $vgpr3_vgpr4
	s_and_saveexec_b32 s2, vcc_lo
	s_xor_b32 s3, exec_lo, s2
	s_cbranch_execz .LBB30_3
; %bb.2:
	s_ashr_i32 s4, s7, 31
	s_delay_alu instid0(SALU_CYCLE_1) | instskip(SKIP_2) | instid1(SALU_CYCLE_1)
	s_add_u32 s8, s6, s4
	s_mov_b32 s5, s4
	s_addc_u32 s9, s7, s4
	s_xor_b64 s[8:9], s[8:9], s[4:5]
	s_delay_alu instid0(SALU_CYCLE_1) | instskip(SKIP_3) | instid1(VALU_DEP_1)
	v_cvt_f32_u32_e32 v0, s8
	v_cvt_f32_u32_e32 v3, s9
	s_sub_u32 s2, 0, s8
	s_subb_u32 s5, 0, s9
	v_fmamk_f32 v0, v3, 0x4f800000, v0
	s_delay_alu instid0(VALU_DEP_1) | instskip(SKIP_2) | instid1(VALU_DEP_1)
	v_rcp_f32_e32 v0, v0
	s_waitcnt_depctr 0xfff
	v_mul_f32_e32 v0, 0x5f7ffffc, v0
	v_mul_f32_e32 v3, 0x2f800000, v0
	s_delay_alu instid0(VALU_DEP_1) | instskip(NEXT) | instid1(VALU_DEP_1)
	v_trunc_f32_e32 v3, v3
	v_fmamk_f32 v0, v3, 0xcf800000, v0
	v_cvt_u32_f32_e32 v3, v3
	s_delay_alu instid0(VALU_DEP_2) | instskip(NEXT) | instid1(VALU_DEP_2)
	v_cvt_u32_f32_e32 v0, v0
	v_mul_lo_u32 v4, s2, v3
	s_delay_alu instid0(VALU_DEP_2) | instskip(SKIP_1) | instid1(VALU_DEP_2)
	v_mul_hi_u32 v5, s2, v0
	v_mul_lo_u32 v6, s5, v0
	v_add_nc_u32_e32 v4, v5, v4
	v_mul_lo_u32 v5, s2, v0
	s_delay_alu instid0(VALU_DEP_2) | instskip(NEXT) | instid1(VALU_DEP_2)
	v_add_nc_u32_e32 v4, v4, v6
	v_mul_hi_u32 v6, v0, v5
	s_delay_alu instid0(VALU_DEP_2)
	v_mul_lo_u32 v7, v0, v4
	v_mul_hi_u32 v8, v0, v4
	v_mul_hi_u32 v9, v3, v5
	v_mul_lo_u32 v5, v3, v5
	v_mul_hi_u32 v10, v3, v4
	v_mul_lo_u32 v4, v3, v4
	v_add_co_u32 v6, vcc_lo, v6, v7
	v_add_co_ci_u32_e32 v7, vcc_lo, 0, v8, vcc_lo
	s_delay_alu instid0(VALU_DEP_2) | instskip(NEXT) | instid1(VALU_DEP_2)
	v_add_co_u32 v5, vcc_lo, v6, v5
	v_add_co_ci_u32_e32 v5, vcc_lo, v7, v9, vcc_lo
	v_add_co_ci_u32_e32 v6, vcc_lo, 0, v10, vcc_lo
	v_ashrrev_i32_e32 v9, 31, v2
	s_delay_alu instid0(VALU_DEP_3) | instskip(NEXT) | instid1(VALU_DEP_3)
	v_add_co_u32 v4, vcc_lo, v5, v4
	v_add_co_ci_u32_e32 v5, vcc_lo, 0, v6, vcc_lo
	s_delay_alu instid0(VALU_DEP_2) | instskip(NEXT) | instid1(VALU_DEP_2)
	v_add_co_u32 v0, vcc_lo, v0, v4
	v_add_co_ci_u32_e32 v3, vcc_lo, v3, v5, vcc_lo
	s_delay_alu instid0(VALU_DEP_2) | instskip(SKIP_1) | instid1(VALU_DEP_3)
	v_mul_hi_u32 v4, s2, v0
	v_mul_lo_u32 v6, s5, v0
	v_mul_lo_u32 v5, s2, v3
	s_delay_alu instid0(VALU_DEP_1) | instskip(SKIP_1) | instid1(VALU_DEP_2)
	v_add_nc_u32_e32 v4, v4, v5
	v_mul_lo_u32 v5, s2, v0
	v_add_nc_u32_e32 v4, v4, v6
	s_delay_alu instid0(VALU_DEP_2) | instskip(NEXT) | instid1(VALU_DEP_2)
	v_mul_hi_u32 v6, v0, v5
	v_mul_lo_u32 v7, v0, v4
	v_mul_hi_u32 v8, v0, v4
	v_mul_hi_u32 v10, v3, v5
	v_mul_lo_u32 v5, v3, v5
	v_mul_hi_u32 v11, v3, v4
	v_mul_lo_u32 v4, v3, v4
	v_add_co_u32 v6, vcc_lo, v6, v7
	v_add_co_ci_u32_e32 v7, vcc_lo, 0, v8, vcc_lo
	s_delay_alu instid0(VALU_DEP_2) | instskip(NEXT) | instid1(VALU_DEP_2)
	v_add_co_u32 v5, vcc_lo, v6, v5
	v_add_co_ci_u32_e32 v5, vcc_lo, v7, v10, vcc_lo
	v_add_co_ci_u32_e32 v6, vcc_lo, 0, v11, vcc_lo
	v_add_co_u32 v7, vcc_lo, v1, v9
	v_add_co_ci_u32_e32 v8, vcc_lo, v2, v9, vcc_lo
	s_delay_alu instid0(VALU_DEP_4) | instskip(NEXT) | instid1(VALU_DEP_4)
	v_add_co_u32 v4, vcc_lo, v5, v4
	v_add_co_ci_u32_e32 v5, vcc_lo, 0, v6, vcc_lo
	s_delay_alu instid0(VALU_DEP_4) | instskip(NEXT) | instid1(VALU_DEP_3)
	v_xor_b32_e32 v10, v7, v9
	v_add_co_u32 v0, vcc_lo, v0, v4
	s_delay_alu instid0(VALU_DEP_3) | instskip(SKIP_1) | instid1(VALU_DEP_3)
	v_add_co_ci_u32_e32 v11, vcc_lo, v3, v5, vcc_lo
	v_xor_b32_e32 v12, v8, v9
	v_mul_hi_u32 v13, v10, v0
	s_delay_alu instid0(VALU_DEP_3) | instskip(NEXT) | instid1(VALU_DEP_3)
	v_mad_u64_u32 v[3:4], null, v10, v11, 0
	v_mad_u64_u32 v[5:6], null, v12, v0, 0
	;; [unrolled: 1-line block ×3, first 2 shown]
	s_delay_alu instid0(VALU_DEP_3) | instskip(NEXT) | instid1(VALU_DEP_4)
	v_add_co_u32 v0, vcc_lo, v13, v3
	v_add_co_ci_u32_e32 v3, vcc_lo, 0, v4, vcc_lo
	s_delay_alu instid0(VALU_DEP_2) | instskip(NEXT) | instid1(VALU_DEP_2)
	v_add_co_u32 v0, vcc_lo, v0, v5
	v_add_co_ci_u32_e32 v0, vcc_lo, v3, v6, vcc_lo
	v_add_co_ci_u32_e32 v3, vcc_lo, 0, v8, vcc_lo
	s_delay_alu instid0(VALU_DEP_2) | instskip(NEXT) | instid1(VALU_DEP_2)
	v_add_co_u32 v0, vcc_lo, v0, v7
	v_add_co_ci_u32_e32 v5, vcc_lo, 0, v3, vcc_lo
	s_delay_alu instid0(VALU_DEP_2) | instskip(SKIP_1) | instid1(VALU_DEP_3)
	v_mul_lo_u32 v6, s9, v0
	v_mad_u64_u32 v[3:4], null, s8, v0, 0
	v_mul_lo_u32 v7, s8, v5
	s_delay_alu instid0(VALU_DEP_2) | instskip(NEXT) | instid1(VALU_DEP_2)
	v_sub_co_u32 v3, vcc_lo, v10, v3
	v_add3_u32 v4, v4, v7, v6
	s_delay_alu instid0(VALU_DEP_1) | instskip(NEXT) | instid1(VALU_DEP_1)
	v_sub_nc_u32_e32 v6, v12, v4
	v_subrev_co_ci_u32_e64 v6, s2, s9, v6, vcc_lo
	v_add_co_u32 v7, s2, v0, 2
	s_delay_alu instid0(VALU_DEP_1) | instskip(SKIP_3) | instid1(VALU_DEP_3)
	v_add_co_ci_u32_e64 v8, s2, 0, v5, s2
	v_sub_co_u32 v10, s2, v3, s8
	v_sub_co_ci_u32_e32 v4, vcc_lo, v12, v4, vcc_lo
	v_subrev_co_ci_u32_e64 v6, s2, 0, v6, s2
	v_cmp_le_u32_e32 vcc_lo, s8, v10
	s_delay_alu instid0(VALU_DEP_3) | instskip(SKIP_1) | instid1(VALU_DEP_4)
	v_cmp_eq_u32_e64 s2, s9, v4
	v_cndmask_b32_e64 v10, 0, -1, vcc_lo
	v_cmp_le_u32_e32 vcc_lo, s9, v6
	v_cndmask_b32_e64 v11, 0, -1, vcc_lo
	v_cmp_le_u32_e32 vcc_lo, s8, v3
	;; [unrolled: 2-line block ×3, first 2 shown]
	v_cndmask_b32_e64 v12, 0, -1, vcc_lo
	v_cmp_eq_u32_e32 vcc_lo, s9, v6
	s_delay_alu instid0(VALU_DEP_2) | instskip(SKIP_3) | instid1(VALU_DEP_3)
	v_cndmask_b32_e64 v3, v12, v3, s2
	v_cndmask_b32_e32 v6, v11, v10, vcc_lo
	v_add_co_u32 v10, vcc_lo, v0, 1
	v_add_co_ci_u32_e32 v11, vcc_lo, 0, v5, vcc_lo
	v_cmp_ne_u32_e32 vcc_lo, 0, v6
	s_delay_alu instid0(VALU_DEP_2) | instskip(NEXT) | instid1(VALU_DEP_4)
	v_cndmask_b32_e32 v4, v11, v8, vcc_lo
	v_cndmask_b32_e32 v6, v10, v7, vcc_lo
	v_cmp_ne_u32_e32 vcc_lo, 0, v3
	v_xor_b32_e32 v7, s4, v9
	s_delay_alu instid0(VALU_DEP_3) | instskip(NEXT) | instid1(VALU_DEP_1)
	v_dual_cndmask_b32 v0, v0, v6 :: v_dual_cndmask_b32 v3, v5, v4
	v_xor_b32_e32 v0, v0, v7
	s_delay_alu instid0(VALU_DEP_2) | instskip(NEXT) | instid1(VALU_DEP_2)
	v_xor_b32_e32 v4, v3, v7
	v_sub_co_u32 v3, vcc_lo, v0, v7
	s_delay_alu instid0(VALU_DEP_2)
	v_sub_co_ci_u32_e32 v4, vcc_lo, v4, v7, vcc_lo
.LBB30_3:
	s_and_not1_saveexec_b32 s2, s3
	s_cbranch_execz .LBB30_5
; %bb.4:
	v_cvt_f32_u32_e32 v0, s6
	s_sub_i32 s3, 0, s6
	s_delay_alu instid0(VALU_DEP_1) | instskip(SKIP_2) | instid1(VALU_DEP_1)
	v_rcp_iflag_f32_e32 v0, v0
	s_waitcnt_depctr 0xfff
	v_mul_f32_e32 v0, 0x4f7ffffe, v0
	v_cvt_u32_f32_e32 v0, v0
	s_delay_alu instid0(VALU_DEP_1) | instskip(NEXT) | instid1(VALU_DEP_1)
	v_mul_lo_u32 v3, s3, v0
	v_mul_hi_u32 v3, v0, v3
	s_delay_alu instid0(VALU_DEP_1) | instskip(NEXT) | instid1(VALU_DEP_1)
	v_add_nc_u32_e32 v0, v0, v3
	v_mul_hi_u32 v0, v1, v0
	s_delay_alu instid0(VALU_DEP_1) | instskip(SKIP_1) | instid1(VALU_DEP_2)
	v_mul_lo_u32 v3, v0, s6
	v_add_nc_u32_e32 v4, 1, v0
	v_sub_nc_u32_e32 v3, v1, v3
	s_delay_alu instid0(VALU_DEP_1) | instskip(SKIP_1) | instid1(VALU_DEP_2)
	v_subrev_nc_u32_e32 v5, s6, v3
	v_cmp_le_u32_e32 vcc_lo, s6, v3
	v_dual_cndmask_b32 v3, v3, v5 :: v_dual_cndmask_b32 v0, v0, v4
	s_delay_alu instid0(VALU_DEP_1) | instskip(NEXT) | instid1(VALU_DEP_2)
	v_cmp_le_u32_e32 vcc_lo, s6, v3
	v_add_nc_u32_e32 v4, 1, v0
	s_delay_alu instid0(VALU_DEP_1)
	v_dual_cndmask_b32 v3, v0, v4 :: v_dual_mov_b32 v4, 0
.LBB30_5:
	s_or_b32 exec_lo, exec_lo, s2
	s_clause 0x1
	s_load_b128 s[20:23], s[0:1], 0x90
	s_load_b128 s[16:19], s[0:1], 0x38
	v_mul_lo_u32 v0, v4, s6
	v_mul_lo_u32 v6, v3, s7
	v_mad_u64_u32 v[4:5], null, v3, s6, 0
	s_clause 0x1
	s_load_b256 s[4:11], s[0:1], 0x18
	s_load_b64 s[2:3], s[0:1], 0x0
	s_delay_alu instid0(VALU_DEP_1) | instskip(NEXT) | instid1(VALU_DEP_2)
	v_add3_u32 v0, v5, v6, v0
	v_sub_co_u32 v6, vcc_lo, v1, v4
	s_delay_alu instid0(VALU_DEP_2)
	v_sub_co_ci_u32_e32 v7, vcc_lo, v2, v0, vcc_lo
	s_waitcnt lgkmcnt(0)
	s_sub_i32 s5, 0, s21
	s_add_i32 s15, s15, s23
	s_max_i32 s12, s21, 0
	s_max_i32 s5, s5, 0
	s_sub_i32 s7, 0, s20
	s_add_i32 s4, s20, s4
	s_sub_i32 s5, s5, s12
	s_add_i32 s4, s4, -1
	s_ashr_i32 s12, s15, 31
	s_max_i32 s13, s20, 0
	v_maxmin_i32 v0, s20, v3, s4
	s_mul_i32 s4, s8, s12
	s_mul_hi_u32 s20, s8, s15
	s_add_i32 s6, s21, s6
	s_max_i32 s7, s7, 0
	s_add_i32 s4, s20, s4
	s_mul_i32 s9, s9, s15
	s_mul_i32 s8, s8, s15
	s_add_i32 s14, s14, s22
	s_add_i32 s6, s6, -1
	s_sub_i32 s7, s7, s13
	s_add_i32 s4, s4, s9
	s_add_u32 s2, s2, s8
	s_addc_u32 s3, s3, s4
	s_ashr_i32 s13, s14, 31
	v_add_nc_u32_e32 v2, s7, v0
	s_mul_i32 s4, s10, s13
	s_mul_hi_u32 s7, s10, s14
	v_maxmin_i32 v4, s21, v6, s6
	s_add_i32 s4, s7, s4
	s_mul_i32 s6, s11, s14
	v_ashrrev_i32_e32 v0, 31, v2
	s_mul_i32 s7, s10, s14
	s_add_i32 s4, s4, s6
	s_add_u32 s2, s2, s7
	s_addc_u32 s3, s3, s4
	v_mul_lo_u32 v5, s16, v0
	v_mad_u64_u32 v[0:1], null, s16, v2, s[2:3]
	v_mul_lo_u32 v2, s17, v2
	v_add_nc_u32_e32 v8, s5, v4
	s_delay_alu instid0(VALU_DEP_1) | instskip(NEXT) | instid1(VALU_DEP_3)
	v_ashrrev_i32_e32 v4, 31, v8
	v_add3_u32 v1, v2, v1, v5
	s_delay_alu instid0(VALU_DEP_2) | instskip(NEXT) | instid1(VALU_DEP_2)
	v_mul_lo_u32 v2, s18, v4
	v_mad_u64_u32 v[4:5], null, s18, v8, v[0:1]
	v_mul_lo_u32 v0, s19, v8
	s_delay_alu instid0(VALU_DEP_1)
	v_add3_u32 v5, v0, v5, v2
	v_ashrrev_i32_e32 v2, 31, v3
	global_load_u8 v4, v[4:5], off
	s_clause 0x1
	s_load_b256 s[4:11], s[0:1], 0x70
	s_load_b64 s[0:1], s[0:1], 0x48
	s_waitcnt lgkmcnt(0)
	s_mul_i32 s2, s4, s12
	s_mul_hi_u32 s3, s4, s15
	s_mul_i32 s4, s4, s15
	s_add_i32 s2, s3, s2
	s_mul_i32 s3, s5, s15
	v_mul_lo_u32 v2, s8, v2
	s_add_i32 s2, s2, s3
	s_add_u32 s0, s0, s4
	s_mul_i32 s3, s6, s13
	s_mul_hi_u32 s4, s6, s14
	s_addc_u32 s1, s1, s2
	s_add_i32 s2, s4, s3
	s_mul_i32 s3, s7, s14
	s_mul_i32 s4, s6, s14
	s_add_i32 s2, s2, s3
	s_add_u32 s0, s0, s4
	s_addc_u32 s1, s1, s2
	s_delay_alu instid0(SALU_CYCLE_1) | instskip(SKIP_1) | instid1(VALU_DEP_1)
	v_mad_u64_u32 v[0:1], null, s8, v3, s[0:1]
	v_mul_lo_u32 v3, s9, v3
	v_add3_u32 v1, v3, v1, v2
	s_delay_alu instid0(VALU_DEP_1) | instskip(SKIP_2) | instid1(VALU_DEP_1)
	v_mad_u64_u32 v[2:3], null, s10, v6, v[0:1]
	v_mul_lo_u32 v0, s10, v7
	v_mul_lo_u32 v1, s11, v6
	v_add3_u32 v3, v1, v3, v0
	s_waitcnt vmcnt(0)
	global_store_b8 v[2:3], v4, off
.LBB30_6:
	s_nop 0
	s_sendmsg sendmsg(MSG_DEALLOC_VGPRS)
	s_endpgm
	.section	.rodata,"a",@progbits
	.p2align	6, 0x0
	.amdhsa_kernel _ZN2at6native12_GLOBAL__N_132replication_pad_forward_kernel2dIaEEvN5torch10headeronly6detail27GenericPackedTensorAccessorINS5_14TensorAccessorIN3c108ArrayRefIlEEKT_Lm3ENS4_16DefaultPtrTraitsElEENS_6detail16IndexBoundsCheckILm4ElEESC_Lm4ESD_lEENS6_INS7_ISA_SB_Lm3ESD_lEESH_SB_Lm4ESD_lEEiiii
		.amdhsa_group_segment_fixed_size 0
		.amdhsa_private_segment_fixed_size 0
		.amdhsa_kernarg_size 416
		.amdhsa_user_sgpr_count 13
		.amdhsa_user_sgpr_dispatch_ptr 0
		.amdhsa_user_sgpr_queue_ptr 0
		.amdhsa_user_sgpr_kernarg_segment_ptr 1
		.amdhsa_user_sgpr_dispatch_id 0
		.amdhsa_user_sgpr_private_segment_size 0
		.amdhsa_wavefront_size32 1
		.amdhsa_uses_dynamic_stack 0
		.amdhsa_enable_private_segment 0
		.amdhsa_system_sgpr_workgroup_id_x 1
		.amdhsa_system_sgpr_workgroup_id_y 1
		.amdhsa_system_sgpr_workgroup_id_z 1
		.amdhsa_system_sgpr_workgroup_info 0
		.amdhsa_system_vgpr_workitem_id 0
		.amdhsa_next_free_vgpr 14
		.amdhsa_next_free_sgpr 24
		.amdhsa_reserve_vcc 1
		.amdhsa_float_round_mode_32 0
		.amdhsa_float_round_mode_16_64 0
		.amdhsa_float_denorm_mode_32 3
		.amdhsa_float_denorm_mode_16_64 3
		.amdhsa_dx10_clamp 1
		.amdhsa_ieee_mode 1
		.amdhsa_fp16_overflow 0
		.amdhsa_workgroup_processor_mode 1
		.amdhsa_memory_ordered 1
		.amdhsa_forward_progress 0
		.amdhsa_shared_vgpr_count 0
		.amdhsa_exception_fp_ieee_invalid_op 0
		.amdhsa_exception_fp_denorm_src 0
		.amdhsa_exception_fp_ieee_div_zero 0
		.amdhsa_exception_fp_ieee_overflow 0
		.amdhsa_exception_fp_ieee_underflow 0
		.amdhsa_exception_fp_ieee_inexact 0
		.amdhsa_exception_int_div_zero 0
	.end_amdhsa_kernel
	.section	.text._ZN2at6native12_GLOBAL__N_132replication_pad_forward_kernel2dIaEEvN5torch10headeronly6detail27GenericPackedTensorAccessorINS5_14TensorAccessorIN3c108ArrayRefIlEEKT_Lm3ENS4_16DefaultPtrTraitsElEENS_6detail16IndexBoundsCheckILm4ElEESC_Lm4ESD_lEENS6_INS7_ISA_SB_Lm3ESD_lEESH_SB_Lm4ESD_lEEiiii,"axG",@progbits,_ZN2at6native12_GLOBAL__N_132replication_pad_forward_kernel2dIaEEvN5torch10headeronly6detail27GenericPackedTensorAccessorINS5_14TensorAccessorIN3c108ArrayRefIlEEKT_Lm3ENS4_16DefaultPtrTraitsElEENS_6detail16IndexBoundsCheckILm4ElEESC_Lm4ESD_lEENS6_INS7_ISA_SB_Lm3ESD_lEESH_SB_Lm4ESD_lEEiiii,comdat
.Lfunc_end30:
	.size	_ZN2at6native12_GLOBAL__N_132replication_pad_forward_kernel2dIaEEvN5torch10headeronly6detail27GenericPackedTensorAccessorINS5_14TensorAccessorIN3c108ArrayRefIlEEKT_Lm3ENS4_16DefaultPtrTraitsElEENS_6detail16IndexBoundsCheckILm4ElEESC_Lm4ESD_lEENS6_INS7_ISA_SB_Lm3ESD_lEESH_SB_Lm4ESD_lEEiiii, .Lfunc_end30-_ZN2at6native12_GLOBAL__N_132replication_pad_forward_kernel2dIaEEvN5torch10headeronly6detail27GenericPackedTensorAccessorINS5_14TensorAccessorIN3c108ArrayRefIlEEKT_Lm3ENS4_16DefaultPtrTraitsElEENS_6detail16IndexBoundsCheckILm4ElEESC_Lm4ESD_lEENS6_INS7_ISA_SB_Lm3ESD_lEESH_SB_Lm4ESD_lEEiiii
                                        ; -- End function
	.section	.AMDGPU.csdata,"",@progbits
; Kernel info:
; codeLenInByte = 1620
; NumSgprs: 26
; NumVgprs: 14
; ScratchSize: 0
; MemoryBound: 0
; FloatMode: 240
; IeeeMode: 1
; LDSByteSize: 0 bytes/workgroup (compile time only)
; SGPRBlocks: 3
; VGPRBlocks: 1
; NumSGPRsForWavesPerEU: 26
; NumVGPRsForWavesPerEU: 14
; Occupancy: 16
; WaveLimiterHint : 1
; COMPUTE_PGM_RSRC2:SCRATCH_EN: 0
; COMPUTE_PGM_RSRC2:USER_SGPR: 13
; COMPUTE_PGM_RSRC2:TRAP_HANDLER: 0
; COMPUTE_PGM_RSRC2:TGID_X_EN: 1
; COMPUTE_PGM_RSRC2:TGID_Y_EN: 1
; COMPUTE_PGM_RSRC2:TGID_Z_EN: 1
; COMPUTE_PGM_RSRC2:TIDIG_COMP_CNT: 0
	.section	.text._ZN2at6native12_GLOBAL__N_132replication_pad_forward_kernel2dIiEEvN5torch10headeronly6detail27GenericPackedTensorAccessorINS5_14TensorAccessorIN3c108ArrayRefIlEEKT_Lm3ENS4_16DefaultPtrTraitsElEENS_6detail16IndexBoundsCheckILm4ElEESC_Lm4ESD_lEENS6_INS7_ISA_SB_Lm3ESD_lEESH_SB_Lm4ESD_lEEiiii,"axG",@progbits,_ZN2at6native12_GLOBAL__N_132replication_pad_forward_kernel2dIiEEvN5torch10headeronly6detail27GenericPackedTensorAccessorINS5_14TensorAccessorIN3c108ArrayRefIlEEKT_Lm3ENS4_16DefaultPtrTraitsElEENS_6detail16IndexBoundsCheckILm4ElEESC_Lm4ESD_lEENS6_INS7_ISA_SB_Lm3ESD_lEESH_SB_Lm4ESD_lEEiiii,comdat
	.globl	_ZN2at6native12_GLOBAL__N_132replication_pad_forward_kernel2dIiEEvN5torch10headeronly6detail27GenericPackedTensorAccessorINS5_14TensorAccessorIN3c108ArrayRefIlEEKT_Lm3ENS4_16DefaultPtrTraitsElEENS_6detail16IndexBoundsCheckILm4ElEESC_Lm4ESD_lEENS6_INS7_ISA_SB_Lm3ESD_lEESH_SB_Lm4ESD_lEEiiii ; -- Begin function _ZN2at6native12_GLOBAL__N_132replication_pad_forward_kernel2dIiEEvN5torch10headeronly6detail27GenericPackedTensorAccessorINS5_14TensorAccessorIN3c108ArrayRefIlEEKT_Lm3ENS4_16DefaultPtrTraitsElEENS_6detail16IndexBoundsCheckILm4ElEESC_Lm4ESD_lEENS6_INS7_ISA_SB_Lm3ESD_lEESH_SB_Lm4ESD_lEEiiii
	.p2align	8
	.type	_ZN2at6native12_GLOBAL__N_132replication_pad_forward_kernel2dIiEEvN5torch10headeronly6detail27GenericPackedTensorAccessorINS5_14TensorAccessorIN3c108ArrayRefIlEEKT_Lm3ENS4_16DefaultPtrTraitsElEENS_6detail16IndexBoundsCheckILm4ElEESC_Lm4ESD_lEENS6_INS7_ISA_SB_Lm3ESD_lEESH_SB_Lm4ESD_lEEiiii,@function
_ZN2at6native12_GLOBAL__N_132replication_pad_forward_kernel2dIiEEvN5torch10headeronly6detail27GenericPackedTensorAccessorINS5_14TensorAccessorIN3c108ArrayRefIlEEKT_Lm3ENS4_16DefaultPtrTraitsElEENS_6detail16IndexBoundsCheckILm4ElEESC_Lm4ESD_lEENS6_INS7_ISA_SB_Lm3ESD_lEESH_SB_Lm4ESD_lEEiiii: ; @_ZN2at6native12_GLOBAL__N_132replication_pad_forward_kernel2dIiEEvN5torch10headeronly6detail27GenericPackedTensorAccessorINS5_14TensorAccessorIN3c108ArrayRefIlEEKT_Lm3ENS4_16DefaultPtrTraitsElEENS_6detail16IndexBoundsCheckILm4ElEESC_Lm4ESD_lEENS6_INS7_ISA_SB_Lm3ESD_lEESH_SB_Lm4ESD_lEEiiii
; %bb.0:
	s_clause 0x1
	s_load_b32 s2, s[0:1], 0xac
	s_load_b128 s[4:7], s[0:1], 0x60
	s_waitcnt lgkmcnt(0)
	s_and_b32 s2, s2, 0xffff
	s_mul_hi_u32 s3, s6, s4
	v_mad_u64_u32 v[1:2], null, s13, s2, v[0:1]
	s_mul_i32 s2, s6, s5
	s_delay_alu instid0(SALU_CYCLE_1) | instskip(SKIP_1) | instid1(SALU_CYCLE_1)
	s_add_i32 s2, s3, s2
	s_mul_i32 s3, s7, s4
	s_add_i32 s3, s2, s3
	s_delay_alu instid0(VALU_DEP_1)
	v_ashrrev_i32_e32 v2, 31, v1
	s_mul_i32 s2, s6, s4
	s_delay_alu instid0(VALU_DEP_1) | instid1(SALU_CYCLE_1)
	v_cmp_gt_i64_e32 vcc_lo, s[2:3], v[1:2]
	s_and_saveexec_b32 s2, vcc_lo
	s_cbranch_execz .LBB31_6
; %bb.1:
	v_or_b32_e32 v4, s7, v2
	v_mov_b32_e32 v3, 0
	s_delay_alu instid0(VALU_DEP_1) | instskip(SKIP_1) | instid1(SALU_CYCLE_1)
	v_cmp_ne_u64_e32 vcc_lo, 0, v[3:4]
                                        ; implicit-def: $vgpr3_vgpr4
	s_and_saveexec_b32 s2, vcc_lo
	s_xor_b32 s3, exec_lo, s2
	s_cbranch_execz .LBB31_3
; %bb.2:
	s_ashr_i32 s4, s7, 31
	s_delay_alu instid0(SALU_CYCLE_1) | instskip(SKIP_2) | instid1(SALU_CYCLE_1)
	s_add_u32 s8, s6, s4
	s_mov_b32 s5, s4
	s_addc_u32 s9, s7, s4
	s_xor_b64 s[8:9], s[8:9], s[4:5]
	s_delay_alu instid0(SALU_CYCLE_1) | instskip(SKIP_3) | instid1(VALU_DEP_1)
	v_cvt_f32_u32_e32 v0, s8
	v_cvt_f32_u32_e32 v3, s9
	s_sub_u32 s2, 0, s8
	s_subb_u32 s5, 0, s9
	v_fmamk_f32 v0, v3, 0x4f800000, v0
	s_delay_alu instid0(VALU_DEP_1) | instskip(SKIP_2) | instid1(VALU_DEP_1)
	v_rcp_f32_e32 v0, v0
	s_waitcnt_depctr 0xfff
	v_mul_f32_e32 v0, 0x5f7ffffc, v0
	v_mul_f32_e32 v3, 0x2f800000, v0
	s_delay_alu instid0(VALU_DEP_1) | instskip(NEXT) | instid1(VALU_DEP_1)
	v_trunc_f32_e32 v3, v3
	v_fmamk_f32 v0, v3, 0xcf800000, v0
	v_cvt_u32_f32_e32 v3, v3
	s_delay_alu instid0(VALU_DEP_2) | instskip(NEXT) | instid1(VALU_DEP_2)
	v_cvt_u32_f32_e32 v0, v0
	v_mul_lo_u32 v4, s2, v3
	s_delay_alu instid0(VALU_DEP_2) | instskip(SKIP_1) | instid1(VALU_DEP_2)
	v_mul_hi_u32 v5, s2, v0
	v_mul_lo_u32 v6, s5, v0
	v_add_nc_u32_e32 v4, v5, v4
	v_mul_lo_u32 v5, s2, v0
	s_delay_alu instid0(VALU_DEP_2) | instskip(NEXT) | instid1(VALU_DEP_2)
	v_add_nc_u32_e32 v4, v4, v6
	v_mul_hi_u32 v6, v0, v5
	s_delay_alu instid0(VALU_DEP_2)
	v_mul_lo_u32 v7, v0, v4
	v_mul_hi_u32 v8, v0, v4
	v_mul_hi_u32 v9, v3, v5
	v_mul_lo_u32 v5, v3, v5
	v_mul_hi_u32 v10, v3, v4
	v_mul_lo_u32 v4, v3, v4
	v_add_co_u32 v6, vcc_lo, v6, v7
	v_add_co_ci_u32_e32 v7, vcc_lo, 0, v8, vcc_lo
	s_delay_alu instid0(VALU_DEP_2) | instskip(NEXT) | instid1(VALU_DEP_2)
	v_add_co_u32 v5, vcc_lo, v6, v5
	v_add_co_ci_u32_e32 v5, vcc_lo, v7, v9, vcc_lo
	v_add_co_ci_u32_e32 v6, vcc_lo, 0, v10, vcc_lo
	v_ashrrev_i32_e32 v9, 31, v2
	s_delay_alu instid0(VALU_DEP_3) | instskip(NEXT) | instid1(VALU_DEP_3)
	v_add_co_u32 v4, vcc_lo, v5, v4
	v_add_co_ci_u32_e32 v5, vcc_lo, 0, v6, vcc_lo
	s_delay_alu instid0(VALU_DEP_2) | instskip(NEXT) | instid1(VALU_DEP_2)
	v_add_co_u32 v0, vcc_lo, v0, v4
	v_add_co_ci_u32_e32 v3, vcc_lo, v3, v5, vcc_lo
	s_delay_alu instid0(VALU_DEP_2) | instskip(SKIP_1) | instid1(VALU_DEP_3)
	v_mul_hi_u32 v4, s2, v0
	v_mul_lo_u32 v6, s5, v0
	v_mul_lo_u32 v5, s2, v3
	s_delay_alu instid0(VALU_DEP_1) | instskip(SKIP_1) | instid1(VALU_DEP_2)
	v_add_nc_u32_e32 v4, v4, v5
	v_mul_lo_u32 v5, s2, v0
	v_add_nc_u32_e32 v4, v4, v6
	s_delay_alu instid0(VALU_DEP_2) | instskip(NEXT) | instid1(VALU_DEP_2)
	v_mul_hi_u32 v6, v0, v5
	v_mul_lo_u32 v7, v0, v4
	v_mul_hi_u32 v8, v0, v4
	v_mul_hi_u32 v10, v3, v5
	v_mul_lo_u32 v5, v3, v5
	v_mul_hi_u32 v11, v3, v4
	v_mul_lo_u32 v4, v3, v4
	v_add_co_u32 v6, vcc_lo, v6, v7
	v_add_co_ci_u32_e32 v7, vcc_lo, 0, v8, vcc_lo
	s_delay_alu instid0(VALU_DEP_2) | instskip(NEXT) | instid1(VALU_DEP_2)
	v_add_co_u32 v5, vcc_lo, v6, v5
	v_add_co_ci_u32_e32 v5, vcc_lo, v7, v10, vcc_lo
	v_add_co_ci_u32_e32 v6, vcc_lo, 0, v11, vcc_lo
	v_add_co_u32 v7, vcc_lo, v1, v9
	v_add_co_ci_u32_e32 v8, vcc_lo, v2, v9, vcc_lo
	s_delay_alu instid0(VALU_DEP_4) | instskip(NEXT) | instid1(VALU_DEP_4)
	v_add_co_u32 v4, vcc_lo, v5, v4
	v_add_co_ci_u32_e32 v5, vcc_lo, 0, v6, vcc_lo
	s_delay_alu instid0(VALU_DEP_4) | instskip(NEXT) | instid1(VALU_DEP_3)
	v_xor_b32_e32 v10, v7, v9
	v_add_co_u32 v0, vcc_lo, v0, v4
	s_delay_alu instid0(VALU_DEP_3) | instskip(SKIP_1) | instid1(VALU_DEP_3)
	v_add_co_ci_u32_e32 v11, vcc_lo, v3, v5, vcc_lo
	v_xor_b32_e32 v12, v8, v9
	v_mul_hi_u32 v13, v10, v0
	s_delay_alu instid0(VALU_DEP_3) | instskip(NEXT) | instid1(VALU_DEP_3)
	v_mad_u64_u32 v[3:4], null, v10, v11, 0
	v_mad_u64_u32 v[5:6], null, v12, v0, 0
	;; [unrolled: 1-line block ×3, first 2 shown]
	s_delay_alu instid0(VALU_DEP_3) | instskip(NEXT) | instid1(VALU_DEP_4)
	v_add_co_u32 v0, vcc_lo, v13, v3
	v_add_co_ci_u32_e32 v3, vcc_lo, 0, v4, vcc_lo
	s_delay_alu instid0(VALU_DEP_2) | instskip(NEXT) | instid1(VALU_DEP_2)
	v_add_co_u32 v0, vcc_lo, v0, v5
	v_add_co_ci_u32_e32 v0, vcc_lo, v3, v6, vcc_lo
	v_add_co_ci_u32_e32 v3, vcc_lo, 0, v8, vcc_lo
	s_delay_alu instid0(VALU_DEP_2) | instskip(NEXT) | instid1(VALU_DEP_2)
	v_add_co_u32 v0, vcc_lo, v0, v7
	v_add_co_ci_u32_e32 v5, vcc_lo, 0, v3, vcc_lo
	s_delay_alu instid0(VALU_DEP_2) | instskip(SKIP_1) | instid1(VALU_DEP_3)
	v_mul_lo_u32 v6, s9, v0
	v_mad_u64_u32 v[3:4], null, s8, v0, 0
	v_mul_lo_u32 v7, s8, v5
	s_delay_alu instid0(VALU_DEP_2) | instskip(NEXT) | instid1(VALU_DEP_2)
	v_sub_co_u32 v3, vcc_lo, v10, v3
	v_add3_u32 v4, v4, v7, v6
	s_delay_alu instid0(VALU_DEP_1) | instskip(NEXT) | instid1(VALU_DEP_1)
	v_sub_nc_u32_e32 v6, v12, v4
	v_subrev_co_ci_u32_e64 v6, s2, s9, v6, vcc_lo
	v_add_co_u32 v7, s2, v0, 2
	s_delay_alu instid0(VALU_DEP_1) | instskip(SKIP_3) | instid1(VALU_DEP_3)
	v_add_co_ci_u32_e64 v8, s2, 0, v5, s2
	v_sub_co_u32 v10, s2, v3, s8
	v_sub_co_ci_u32_e32 v4, vcc_lo, v12, v4, vcc_lo
	v_subrev_co_ci_u32_e64 v6, s2, 0, v6, s2
	v_cmp_le_u32_e32 vcc_lo, s8, v10
	s_delay_alu instid0(VALU_DEP_3) | instskip(SKIP_1) | instid1(VALU_DEP_4)
	v_cmp_eq_u32_e64 s2, s9, v4
	v_cndmask_b32_e64 v10, 0, -1, vcc_lo
	v_cmp_le_u32_e32 vcc_lo, s9, v6
	v_cndmask_b32_e64 v11, 0, -1, vcc_lo
	v_cmp_le_u32_e32 vcc_lo, s8, v3
	;; [unrolled: 2-line block ×3, first 2 shown]
	v_cndmask_b32_e64 v12, 0, -1, vcc_lo
	v_cmp_eq_u32_e32 vcc_lo, s9, v6
	s_delay_alu instid0(VALU_DEP_2) | instskip(SKIP_3) | instid1(VALU_DEP_3)
	v_cndmask_b32_e64 v3, v12, v3, s2
	v_cndmask_b32_e32 v6, v11, v10, vcc_lo
	v_add_co_u32 v10, vcc_lo, v0, 1
	v_add_co_ci_u32_e32 v11, vcc_lo, 0, v5, vcc_lo
	v_cmp_ne_u32_e32 vcc_lo, 0, v6
	s_delay_alu instid0(VALU_DEP_2) | instskip(NEXT) | instid1(VALU_DEP_4)
	v_cndmask_b32_e32 v4, v11, v8, vcc_lo
	v_cndmask_b32_e32 v6, v10, v7, vcc_lo
	v_cmp_ne_u32_e32 vcc_lo, 0, v3
	v_xor_b32_e32 v7, s4, v9
	s_delay_alu instid0(VALU_DEP_3) | instskip(NEXT) | instid1(VALU_DEP_1)
	v_dual_cndmask_b32 v0, v0, v6 :: v_dual_cndmask_b32 v3, v5, v4
	v_xor_b32_e32 v0, v0, v7
	s_delay_alu instid0(VALU_DEP_2) | instskip(NEXT) | instid1(VALU_DEP_2)
	v_xor_b32_e32 v4, v3, v7
	v_sub_co_u32 v3, vcc_lo, v0, v7
	s_delay_alu instid0(VALU_DEP_2)
	v_sub_co_ci_u32_e32 v4, vcc_lo, v4, v7, vcc_lo
.LBB31_3:
	s_and_not1_saveexec_b32 s2, s3
	s_cbranch_execz .LBB31_5
; %bb.4:
	v_cvt_f32_u32_e32 v0, s6
	s_sub_i32 s3, 0, s6
	s_delay_alu instid0(VALU_DEP_1) | instskip(SKIP_2) | instid1(VALU_DEP_1)
	v_rcp_iflag_f32_e32 v0, v0
	s_waitcnt_depctr 0xfff
	v_mul_f32_e32 v0, 0x4f7ffffe, v0
	v_cvt_u32_f32_e32 v0, v0
	s_delay_alu instid0(VALU_DEP_1) | instskip(NEXT) | instid1(VALU_DEP_1)
	v_mul_lo_u32 v3, s3, v0
	v_mul_hi_u32 v3, v0, v3
	s_delay_alu instid0(VALU_DEP_1) | instskip(NEXT) | instid1(VALU_DEP_1)
	v_add_nc_u32_e32 v0, v0, v3
	v_mul_hi_u32 v0, v1, v0
	s_delay_alu instid0(VALU_DEP_1) | instskip(SKIP_1) | instid1(VALU_DEP_2)
	v_mul_lo_u32 v3, v0, s6
	v_add_nc_u32_e32 v4, 1, v0
	v_sub_nc_u32_e32 v3, v1, v3
	s_delay_alu instid0(VALU_DEP_1) | instskip(SKIP_1) | instid1(VALU_DEP_2)
	v_subrev_nc_u32_e32 v5, s6, v3
	v_cmp_le_u32_e32 vcc_lo, s6, v3
	v_dual_cndmask_b32 v3, v3, v5 :: v_dual_cndmask_b32 v0, v0, v4
	s_delay_alu instid0(VALU_DEP_1) | instskip(NEXT) | instid1(VALU_DEP_2)
	v_cmp_le_u32_e32 vcc_lo, s6, v3
	v_add_nc_u32_e32 v4, 1, v0
	s_delay_alu instid0(VALU_DEP_1)
	v_dual_cndmask_b32 v3, v0, v4 :: v_dual_mov_b32 v4, 0
.LBB31_5:
	s_or_b32 exec_lo, exec_lo, s2
	s_clause 0x1
	s_load_b128 s[20:23], s[0:1], 0x90
	s_load_b128 s[16:19], s[0:1], 0x38
	v_mul_lo_u32 v0, v4, s6
	v_mul_lo_u32 v6, v3, s7
	v_mad_u64_u32 v[4:5], null, v3, s6, 0
	s_clause 0x1
	s_load_b256 s[4:11], s[0:1], 0x18
	s_load_b64 s[2:3], s[0:1], 0x0
	s_delay_alu instid0(VALU_DEP_1) | instskip(NEXT) | instid1(VALU_DEP_2)
	v_add3_u32 v0, v5, v6, v0
	v_sub_co_u32 v6, vcc_lo, v1, v4
	s_delay_alu instid0(VALU_DEP_2)
	v_sub_co_ci_u32_e32 v2, vcc_lo, v2, v0, vcc_lo
	s_waitcnt lgkmcnt(0)
	s_sub_i32 s7, 0, s20
	s_max_i32 s13, s20, 0
	s_max_i32 s7, s7, 0
	s_sub_i32 s5, 0, s21
	s_sub_i32 s7, s7, s13
	s_add_i32 s4, s20, s4
	s_add_i32 s6, s21, s6
	s_add_i32 s4, s4, -1
	s_add_i32 s6, s6, -1
	v_maxmin_i32 v1, s20, v3, s4
	v_maxmin_i32 v0, s21, v6, s6
	s_max_i32 s12, s21, 0
	s_max_i32 s5, s5, 0
	s_add_i32 s15, s15, s23
	v_add_nc_u32_e32 v4, s7, v1
	s_sub_i32 s6, s5, s12
	s_ashr_i32 s12, s15, 31
	v_add_nc_u32_e32 v7, s6, v0
	s_mul_i32 s5, s8, s12
	v_ashrrev_i32_e32 v0, 31, v4
	s_mul_hi_u32 s21, s8, s15
	s_mul_i32 s9, s9, s15
	s_add_i32 s5, s21, s5
	v_ashrrev_i32_e32 v5, 31, v7
	v_mul_lo_u32 v8, s16, v0
	v_mul_lo_u32 v9, s17, v4
	v_mad_u64_u32 v[0:1], null, s16, v4, 0
	s_add_i32 s5, s5, s9
	s_mul_i32 s4, s8, s15
	s_add_i32 s14, s14, s22
	s_lshl_b64 s[4:5], s[4:5], 2
	v_mul_lo_u32 v10, s18, v5
	v_mul_lo_u32 v11, s19, v7
	v_mad_u64_u32 v[4:5], null, s18, v7, 0
	s_add_u32 s4, s2, s4
	s_addc_u32 s5, s3, s5
	s_ashr_i32 s13, s14, 31
	v_add3_u32 v1, v1, v8, v9
	s_mul_i32 s2, s10, s13
	s_mul_hi_u32 s3, s10, s14
	s_delay_alu instid0(VALU_DEP_2)
	v_add3_u32 v5, v5, v10, v11
	s_add_i32 s2, s3, s2
	s_mul_i32 s3, s11, s14
	v_lshlrev_b64 v[0:1], 2, v[0:1]
	s_add_i32 s3, s2, s3
	s_mul_i32 s2, s10, s14
	v_lshlrev_b64 v[4:5], 2, v[4:5]
	s_lshl_b64 s[2:3], s[2:3], 2
	s_delay_alu instid0(SALU_CYCLE_1) | instskip(SKIP_3) | instid1(VALU_DEP_2)
	s_add_u32 s2, s4, s2
	s_addc_u32 s3, s5, s3
	v_add_co_u32 v0, vcc_lo, s2, v0
	v_add_co_ci_u32_e32 v1, vcc_lo, s3, v1, vcc_lo
	v_add_co_u32 v0, vcc_lo, v0, v4
	s_delay_alu instid0(VALU_DEP_2)
	v_add_co_ci_u32_e32 v1, vcc_lo, v1, v5, vcc_lo
	global_load_b32 v4, v[0:1], off
	s_clause 0x1
	s_load_b256 s[4:11], s[0:1], 0x70
	s_load_b64 s[0:1], s[0:1], 0x48
	v_ashrrev_i32_e32 v0, 31, v3
	s_waitcnt lgkmcnt(0)
	v_mul_lo_u32 v5, s9, v3
	s_delay_alu instid0(VALU_DEP_2)
	v_mul_lo_u32 v7, s8, v0
	v_mad_u64_u32 v[0:1], null, s8, v3, 0
	s_mul_i32 s2, s4, s12
	s_mul_hi_u32 s3, s4, s15
	v_mul_lo_u32 v8, s11, v6
	s_add_i32 s2, s3, s2
	s_mul_i32 s3, s5, s15
	v_mul_lo_u32 v9, s10, v2
	s_add_i32 s3, s2, s3
	s_mul_i32 s2, s4, s15
	v_mad_u64_u32 v[2:3], null, s10, v6, 0
	s_lshl_b64 s[2:3], s[2:3], 2
	v_add3_u32 v1, v1, v7, v5
	s_add_u32 s2, s0, s2
	s_mul_i32 s0, s6, s13
	s_mul_hi_u32 s4, s6, s14
	s_addc_u32 s3, s1, s3
	s_add_i32 s0, s4, s0
	s_mul_i32 s1, s7, s14
	v_add3_u32 v3, v3, v9, v8
	s_add_i32 s1, s0, s1
	s_mul_i32 s0, s6, s14
	v_lshlrev_b64 v[0:1], 2, v[0:1]
	s_lshl_b64 s[0:1], s[0:1], 2
	v_lshlrev_b64 v[2:3], 2, v[2:3]
	s_add_u32 s0, s2, s0
	s_addc_u32 s1, s3, s1
	s_delay_alu instid0(VALU_DEP_2) | instskip(SKIP_1) | instid1(VALU_DEP_2)
	v_add_co_u32 v0, vcc_lo, s0, v0
	v_add_co_ci_u32_e32 v1, vcc_lo, s1, v1, vcc_lo
	v_add_co_u32 v0, vcc_lo, v0, v2
	s_delay_alu instid0(VALU_DEP_2)
	v_add_co_ci_u32_e32 v1, vcc_lo, v1, v3, vcc_lo
	s_waitcnt vmcnt(0)
	global_store_b32 v[0:1], v4, off
.LBB31_6:
	s_nop 0
	s_sendmsg sendmsg(MSG_DEALLOC_VGPRS)
	s_endpgm
	.section	.rodata,"a",@progbits
	.p2align	6, 0x0
	.amdhsa_kernel _ZN2at6native12_GLOBAL__N_132replication_pad_forward_kernel2dIiEEvN5torch10headeronly6detail27GenericPackedTensorAccessorINS5_14TensorAccessorIN3c108ArrayRefIlEEKT_Lm3ENS4_16DefaultPtrTraitsElEENS_6detail16IndexBoundsCheckILm4ElEESC_Lm4ESD_lEENS6_INS7_ISA_SB_Lm3ESD_lEESH_SB_Lm4ESD_lEEiiii
		.amdhsa_group_segment_fixed_size 0
		.amdhsa_private_segment_fixed_size 0
		.amdhsa_kernarg_size 416
		.amdhsa_user_sgpr_count 13
		.amdhsa_user_sgpr_dispatch_ptr 0
		.amdhsa_user_sgpr_queue_ptr 0
		.amdhsa_user_sgpr_kernarg_segment_ptr 1
		.amdhsa_user_sgpr_dispatch_id 0
		.amdhsa_user_sgpr_private_segment_size 0
		.amdhsa_wavefront_size32 1
		.amdhsa_uses_dynamic_stack 0
		.amdhsa_enable_private_segment 0
		.amdhsa_system_sgpr_workgroup_id_x 1
		.amdhsa_system_sgpr_workgroup_id_y 1
		.amdhsa_system_sgpr_workgroup_id_z 1
		.amdhsa_system_sgpr_workgroup_info 0
		.amdhsa_system_vgpr_workitem_id 0
		.amdhsa_next_free_vgpr 14
		.amdhsa_next_free_sgpr 24
		.amdhsa_reserve_vcc 1
		.amdhsa_float_round_mode_32 0
		.amdhsa_float_round_mode_16_64 0
		.amdhsa_float_denorm_mode_32 3
		.amdhsa_float_denorm_mode_16_64 3
		.amdhsa_dx10_clamp 1
		.amdhsa_ieee_mode 1
		.amdhsa_fp16_overflow 0
		.amdhsa_workgroup_processor_mode 1
		.amdhsa_memory_ordered 1
		.amdhsa_forward_progress 0
		.amdhsa_shared_vgpr_count 0
		.amdhsa_exception_fp_ieee_invalid_op 0
		.amdhsa_exception_fp_denorm_src 0
		.amdhsa_exception_fp_ieee_div_zero 0
		.amdhsa_exception_fp_ieee_overflow 0
		.amdhsa_exception_fp_ieee_underflow 0
		.amdhsa_exception_fp_ieee_inexact 0
		.amdhsa_exception_int_div_zero 0
	.end_amdhsa_kernel
	.section	.text._ZN2at6native12_GLOBAL__N_132replication_pad_forward_kernel2dIiEEvN5torch10headeronly6detail27GenericPackedTensorAccessorINS5_14TensorAccessorIN3c108ArrayRefIlEEKT_Lm3ENS4_16DefaultPtrTraitsElEENS_6detail16IndexBoundsCheckILm4ElEESC_Lm4ESD_lEENS6_INS7_ISA_SB_Lm3ESD_lEESH_SB_Lm4ESD_lEEiiii,"axG",@progbits,_ZN2at6native12_GLOBAL__N_132replication_pad_forward_kernel2dIiEEvN5torch10headeronly6detail27GenericPackedTensorAccessorINS5_14TensorAccessorIN3c108ArrayRefIlEEKT_Lm3ENS4_16DefaultPtrTraitsElEENS_6detail16IndexBoundsCheckILm4ElEESC_Lm4ESD_lEENS6_INS7_ISA_SB_Lm3ESD_lEESH_SB_Lm4ESD_lEEiiii,comdat
.Lfunc_end31:
	.size	_ZN2at6native12_GLOBAL__N_132replication_pad_forward_kernel2dIiEEvN5torch10headeronly6detail27GenericPackedTensorAccessorINS5_14TensorAccessorIN3c108ArrayRefIlEEKT_Lm3ENS4_16DefaultPtrTraitsElEENS_6detail16IndexBoundsCheckILm4ElEESC_Lm4ESD_lEENS6_INS7_ISA_SB_Lm3ESD_lEESH_SB_Lm4ESD_lEEiiii, .Lfunc_end31-_ZN2at6native12_GLOBAL__N_132replication_pad_forward_kernel2dIiEEvN5torch10headeronly6detail27GenericPackedTensorAccessorINS5_14TensorAccessorIN3c108ArrayRefIlEEKT_Lm3ENS4_16DefaultPtrTraitsElEENS_6detail16IndexBoundsCheckILm4ElEESC_Lm4ESD_lEENS6_INS7_ISA_SB_Lm3ESD_lEESH_SB_Lm4ESD_lEEiiii
                                        ; -- End function
	.section	.AMDGPU.csdata,"",@progbits
; Kernel info:
; codeLenInByte = 1720
; NumSgprs: 26
; NumVgprs: 14
; ScratchSize: 0
; MemoryBound: 0
; FloatMode: 240
; IeeeMode: 1
; LDSByteSize: 0 bytes/workgroup (compile time only)
; SGPRBlocks: 3
; VGPRBlocks: 1
; NumSGPRsForWavesPerEU: 26
; NumVGPRsForWavesPerEU: 14
; Occupancy: 16
; WaveLimiterHint : 1
; COMPUTE_PGM_RSRC2:SCRATCH_EN: 0
; COMPUTE_PGM_RSRC2:USER_SGPR: 13
; COMPUTE_PGM_RSRC2:TRAP_HANDLER: 0
; COMPUTE_PGM_RSRC2:TGID_X_EN: 1
; COMPUTE_PGM_RSRC2:TGID_Y_EN: 1
; COMPUTE_PGM_RSRC2:TGID_Z_EN: 1
; COMPUTE_PGM_RSRC2:TIDIG_COMP_CNT: 0
	.section	.text._ZN2at6native12_GLOBAL__N_132replication_pad_forward_kernel2dIlEEvN5torch10headeronly6detail27GenericPackedTensorAccessorINS5_14TensorAccessorIN3c108ArrayRefIlEEKT_Lm3ENS4_16DefaultPtrTraitsElEENS_6detail16IndexBoundsCheckILm4ElEESC_Lm4ESD_lEENS6_INS7_ISA_SB_Lm3ESD_lEESH_SB_Lm4ESD_lEEiiii,"axG",@progbits,_ZN2at6native12_GLOBAL__N_132replication_pad_forward_kernel2dIlEEvN5torch10headeronly6detail27GenericPackedTensorAccessorINS5_14TensorAccessorIN3c108ArrayRefIlEEKT_Lm3ENS4_16DefaultPtrTraitsElEENS_6detail16IndexBoundsCheckILm4ElEESC_Lm4ESD_lEENS6_INS7_ISA_SB_Lm3ESD_lEESH_SB_Lm4ESD_lEEiiii,comdat
	.globl	_ZN2at6native12_GLOBAL__N_132replication_pad_forward_kernel2dIlEEvN5torch10headeronly6detail27GenericPackedTensorAccessorINS5_14TensorAccessorIN3c108ArrayRefIlEEKT_Lm3ENS4_16DefaultPtrTraitsElEENS_6detail16IndexBoundsCheckILm4ElEESC_Lm4ESD_lEENS6_INS7_ISA_SB_Lm3ESD_lEESH_SB_Lm4ESD_lEEiiii ; -- Begin function _ZN2at6native12_GLOBAL__N_132replication_pad_forward_kernel2dIlEEvN5torch10headeronly6detail27GenericPackedTensorAccessorINS5_14TensorAccessorIN3c108ArrayRefIlEEKT_Lm3ENS4_16DefaultPtrTraitsElEENS_6detail16IndexBoundsCheckILm4ElEESC_Lm4ESD_lEENS6_INS7_ISA_SB_Lm3ESD_lEESH_SB_Lm4ESD_lEEiiii
	.p2align	8
	.type	_ZN2at6native12_GLOBAL__N_132replication_pad_forward_kernel2dIlEEvN5torch10headeronly6detail27GenericPackedTensorAccessorINS5_14TensorAccessorIN3c108ArrayRefIlEEKT_Lm3ENS4_16DefaultPtrTraitsElEENS_6detail16IndexBoundsCheckILm4ElEESC_Lm4ESD_lEENS6_INS7_ISA_SB_Lm3ESD_lEESH_SB_Lm4ESD_lEEiiii,@function
_ZN2at6native12_GLOBAL__N_132replication_pad_forward_kernel2dIlEEvN5torch10headeronly6detail27GenericPackedTensorAccessorINS5_14TensorAccessorIN3c108ArrayRefIlEEKT_Lm3ENS4_16DefaultPtrTraitsElEENS_6detail16IndexBoundsCheckILm4ElEESC_Lm4ESD_lEENS6_INS7_ISA_SB_Lm3ESD_lEESH_SB_Lm4ESD_lEEiiii: ; @_ZN2at6native12_GLOBAL__N_132replication_pad_forward_kernel2dIlEEvN5torch10headeronly6detail27GenericPackedTensorAccessorINS5_14TensorAccessorIN3c108ArrayRefIlEEKT_Lm3ENS4_16DefaultPtrTraitsElEENS_6detail16IndexBoundsCheckILm4ElEESC_Lm4ESD_lEENS6_INS7_ISA_SB_Lm3ESD_lEESH_SB_Lm4ESD_lEEiiii
; %bb.0:
	s_clause 0x1
	s_load_b32 s2, s[0:1], 0xac
	s_load_b128 s[4:7], s[0:1], 0x60
	s_waitcnt lgkmcnt(0)
	s_and_b32 s2, s2, 0xffff
	s_mul_hi_u32 s3, s6, s4
	v_mad_u64_u32 v[1:2], null, s13, s2, v[0:1]
	s_mul_i32 s2, s6, s5
	s_delay_alu instid0(SALU_CYCLE_1) | instskip(SKIP_1) | instid1(SALU_CYCLE_1)
	s_add_i32 s2, s3, s2
	s_mul_i32 s3, s7, s4
	s_add_i32 s3, s2, s3
	s_delay_alu instid0(VALU_DEP_1)
	v_ashrrev_i32_e32 v2, 31, v1
	s_mul_i32 s2, s6, s4
	s_delay_alu instid0(VALU_DEP_1) | instid1(SALU_CYCLE_1)
	v_cmp_gt_i64_e32 vcc_lo, s[2:3], v[1:2]
	s_and_saveexec_b32 s2, vcc_lo
	s_cbranch_execz .LBB32_6
; %bb.1:
	v_or_b32_e32 v4, s7, v2
	v_mov_b32_e32 v3, 0
	s_delay_alu instid0(VALU_DEP_1) | instskip(SKIP_1) | instid1(SALU_CYCLE_1)
	v_cmp_ne_u64_e32 vcc_lo, 0, v[3:4]
                                        ; implicit-def: $vgpr3_vgpr4
	s_and_saveexec_b32 s2, vcc_lo
	s_xor_b32 s3, exec_lo, s2
	s_cbranch_execz .LBB32_3
; %bb.2:
	s_ashr_i32 s4, s7, 31
	s_delay_alu instid0(SALU_CYCLE_1) | instskip(SKIP_2) | instid1(SALU_CYCLE_1)
	s_add_u32 s8, s6, s4
	s_mov_b32 s5, s4
	s_addc_u32 s9, s7, s4
	s_xor_b64 s[8:9], s[8:9], s[4:5]
	s_delay_alu instid0(SALU_CYCLE_1) | instskip(SKIP_3) | instid1(VALU_DEP_1)
	v_cvt_f32_u32_e32 v0, s8
	v_cvt_f32_u32_e32 v3, s9
	s_sub_u32 s2, 0, s8
	s_subb_u32 s5, 0, s9
	v_fmamk_f32 v0, v3, 0x4f800000, v0
	s_delay_alu instid0(VALU_DEP_1) | instskip(SKIP_2) | instid1(VALU_DEP_1)
	v_rcp_f32_e32 v0, v0
	s_waitcnt_depctr 0xfff
	v_mul_f32_e32 v0, 0x5f7ffffc, v0
	v_mul_f32_e32 v3, 0x2f800000, v0
	s_delay_alu instid0(VALU_DEP_1) | instskip(NEXT) | instid1(VALU_DEP_1)
	v_trunc_f32_e32 v3, v3
	v_fmamk_f32 v0, v3, 0xcf800000, v0
	v_cvt_u32_f32_e32 v3, v3
	s_delay_alu instid0(VALU_DEP_2) | instskip(NEXT) | instid1(VALU_DEP_2)
	v_cvt_u32_f32_e32 v0, v0
	v_mul_lo_u32 v4, s2, v3
	s_delay_alu instid0(VALU_DEP_2) | instskip(SKIP_1) | instid1(VALU_DEP_2)
	v_mul_hi_u32 v5, s2, v0
	v_mul_lo_u32 v6, s5, v0
	v_add_nc_u32_e32 v4, v5, v4
	v_mul_lo_u32 v5, s2, v0
	s_delay_alu instid0(VALU_DEP_2) | instskip(NEXT) | instid1(VALU_DEP_2)
	v_add_nc_u32_e32 v4, v4, v6
	v_mul_hi_u32 v6, v0, v5
	s_delay_alu instid0(VALU_DEP_2)
	v_mul_lo_u32 v7, v0, v4
	v_mul_hi_u32 v8, v0, v4
	v_mul_hi_u32 v9, v3, v5
	v_mul_lo_u32 v5, v3, v5
	v_mul_hi_u32 v10, v3, v4
	v_mul_lo_u32 v4, v3, v4
	v_add_co_u32 v6, vcc_lo, v6, v7
	v_add_co_ci_u32_e32 v7, vcc_lo, 0, v8, vcc_lo
	s_delay_alu instid0(VALU_DEP_2) | instskip(NEXT) | instid1(VALU_DEP_2)
	v_add_co_u32 v5, vcc_lo, v6, v5
	v_add_co_ci_u32_e32 v5, vcc_lo, v7, v9, vcc_lo
	v_add_co_ci_u32_e32 v6, vcc_lo, 0, v10, vcc_lo
	v_ashrrev_i32_e32 v9, 31, v2
	s_delay_alu instid0(VALU_DEP_3) | instskip(NEXT) | instid1(VALU_DEP_3)
	v_add_co_u32 v4, vcc_lo, v5, v4
	v_add_co_ci_u32_e32 v5, vcc_lo, 0, v6, vcc_lo
	s_delay_alu instid0(VALU_DEP_2) | instskip(NEXT) | instid1(VALU_DEP_2)
	v_add_co_u32 v0, vcc_lo, v0, v4
	v_add_co_ci_u32_e32 v3, vcc_lo, v3, v5, vcc_lo
	s_delay_alu instid0(VALU_DEP_2) | instskip(SKIP_1) | instid1(VALU_DEP_3)
	v_mul_hi_u32 v4, s2, v0
	v_mul_lo_u32 v6, s5, v0
	v_mul_lo_u32 v5, s2, v3
	s_delay_alu instid0(VALU_DEP_1) | instskip(SKIP_1) | instid1(VALU_DEP_2)
	v_add_nc_u32_e32 v4, v4, v5
	v_mul_lo_u32 v5, s2, v0
	v_add_nc_u32_e32 v4, v4, v6
	s_delay_alu instid0(VALU_DEP_2) | instskip(NEXT) | instid1(VALU_DEP_2)
	v_mul_hi_u32 v6, v0, v5
	v_mul_lo_u32 v7, v0, v4
	v_mul_hi_u32 v8, v0, v4
	v_mul_hi_u32 v10, v3, v5
	v_mul_lo_u32 v5, v3, v5
	v_mul_hi_u32 v11, v3, v4
	v_mul_lo_u32 v4, v3, v4
	v_add_co_u32 v6, vcc_lo, v6, v7
	v_add_co_ci_u32_e32 v7, vcc_lo, 0, v8, vcc_lo
	s_delay_alu instid0(VALU_DEP_2) | instskip(NEXT) | instid1(VALU_DEP_2)
	v_add_co_u32 v5, vcc_lo, v6, v5
	v_add_co_ci_u32_e32 v5, vcc_lo, v7, v10, vcc_lo
	v_add_co_ci_u32_e32 v6, vcc_lo, 0, v11, vcc_lo
	v_add_co_u32 v7, vcc_lo, v1, v9
	v_add_co_ci_u32_e32 v8, vcc_lo, v2, v9, vcc_lo
	s_delay_alu instid0(VALU_DEP_4) | instskip(NEXT) | instid1(VALU_DEP_4)
	v_add_co_u32 v4, vcc_lo, v5, v4
	v_add_co_ci_u32_e32 v5, vcc_lo, 0, v6, vcc_lo
	s_delay_alu instid0(VALU_DEP_4) | instskip(NEXT) | instid1(VALU_DEP_3)
	v_xor_b32_e32 v10, v7, v9
	v_add_co_u32 v0, vcc_lo, v0, v4
	s_delay_alu instid0(VALU_DEP_3) | instskip(SKIP_1) | instid1(VALU_DEP_3)
	v_add_co_ci_u32_e32 v11, vcc_lo, v3, v5, vcc_lo
	v_xor_b32_e32 v12, v8, v9
	v_mul_hi_u32 v13, v10, v0
	s_delay_alu instid0(VALU_DEP_3) | instskip(NEXT) | instid1(VALU_DEP_3)
	v_mad_u64_u32 v[3:4], null, v10, v11, 0
	v_mad_u64_u32 v[5:6], null, v12, v0, 0
	;; [unrolled: 1-line block ×3, first 2 shown]
	s_delay_alu instid0(VALU_DEP_3) | instskip(NEXT) | instid1(VALU_DEP_4)
	v_add_co_u32 v0, vcc_lo, v13, v3
	v_add_co_ci_u32_e32 v3, vcc_lo, 0, v4, vcc_lo
	s_delay_alu instid0(VALU_DEP_2) | instskip(NEXT) | instid1(VALU_DEP_2)
	v_add_co_u32 v0, vcc_lo, v0, v5
	v_add_co_ci_u32_e32 v0, vcc_lo, v3, v6, vcc_lo
	v_add_co_ci_u32_e32 v3, vcc_lo, 0, v8, vcc_lo
	s_delay_alu instid0(VALU_DEP_2) | instskip(NEXT) | instid1(VALU_DEP_2)
	v_add_co_u32 v0, vcc_lo, v0, v7
	v_add_co_ci_u32_e32 v5, vcc_lo, 0, v3, vcc_lo
	s_delay_alu instid0(VALU_DEP_2) | instskip(SKIP_1) | instid1(VALU_DEP_3)
	v_mul_lo_u32 v6, s9, v0
	v_mad_u64_u32 v[3:4], null, s8, v0, 0
	v_mul_lo_u32 v7, s8, v5
	s_delay_alu instid0(VALU_DEP_2) | instskip(NEXT) | instid1(VALU_DEP_2)
	v_sub_co_u32 v3, vcc_lo, v10, v3
	v_add3_u32 v4, v4, v7, v6
	s_delay_alu instid0(VALU_DEP_1) | instskip(NEXT) | instid1(VALU_DEP_1)
	v_sub_nc_u32_e32 v6, v12, v4
	v_subrev_co_ci_u32_e64 v6, s2, s9, v6, vcc_lo
	v_add_co_u32 v7, s2, v0, 2
	s_delay_alu instid0(VALU_DEP_1) | instskip(SKIP_3) | instid1(VALU_DEP_3)
	v_add_co_ci_u32_e64 v8, s2, 0, v5, s2
	v_sub_co_u32 v10, s2, v3, s8
	v_sub_co_ci_u32_e32 v4, vcc_lo, v12, v4, vcc_lo
	v_subrev_co_ci_u32_e64 v6, s2, 0, v6, s2
	v_cmp_le_u32_e32 vcc_lo, s8, v10
	s_delay_alu instid0(VALU_DEP_3) | instskip(SKIP_1) | instid1(VALU_DEP_4)
	v_cmp_eq_u32_e64 s2, s9, v4
	v_cndmask_b32_e64 v10, 0, -1, vcc_lo
	v_cmp_le_u32_e32 vcc_lo, s9, v6
	v_cndmask_b32_e64 v11, 0, -1, vcc_lo
	v_cmp_le_u32_e32 vcc_lo, s8, v3
	;; [unrolled: 2-line block ×3, first 2 shown]
	v_cndmask_b32_e64 v12, 0, -1, vcc_lo
	v_cmp_eq_u32_e32 vcc_lo, s9, v6
	s_delay_alu instid0(VALU_DEP_2) | instskip(SKIP_3) | instid1(VALU_DEP_3)
	v_cndmask_b32_e64 v3, v12, v3, s2
	v_cndmask_b32_e32 v6, v11, v10, vcc_lo
	v_add_co_u32 v10, vcc_lo, v0, 1
	v_add_co_ci_u32_e32 v11, vcc_lo, 0, v5, vcc_lo
	v_cmp_ne_u32_e32 vcc_lo, 0, v6
	s_delay_alu instid0(VALU_DEP_2) | instskip(NEXT) | instid1(VALU_DEP_4)
	v_cndmask_b32_e32 v4, v11, v8, vcc_lo
	v_cndmask_b32_e32 v6, v10, v7, vcc_lo
	v_cmp_ne_u32_e32 vcc_lo, 0, v3
	v_xor_b32_e32 v7, s4, v9
	s_delay_alu instid0(VALU_DEP_3) | instskip(NEXT) | instid1(VALU_DEP_1)
	v_dual_cndmask_b32 v0, v0, v6 :: v_dual_cndmask_b32 v3, v5, v4
	v_xor_b32_e32 v0, v0, v7
	s_delay_alu instid0(VALU_DEP_2) | instskip(NEXT) | instid1(VALU_DEP_2)
	v_xor_b32_e32 v4, v3, v7
	v_sub_co_u32 v3, vcc_lo, v0, v7
	s_delay_alu instid0(VALU_DEP_2)
	v_sub_co_ci_u32_e32 v4, vcc_lo, v4, v7, vcc_lo
.LBB32_3:
	s_and_not1_saveexec_b32 s2, s3
	s_cbranch_execz .LBB32_5
; %bb.4:
	v_cvt_f32_u32_e32 v0, s6
	s_sub_i32 s3, 0, s6
	s_delay_alu instid0(VALU_DEP_1) | instskip(SKIP_2) | instid1(VALU_DEP_1)
	v_rcp_iflag_f32_e32 v0, v0
	s_waitcnt_depctr 0xfff
	v_mul_f32_e32 v0, 0x4f7ffffe, v0
	v_cvt_u32_f32_e32 v0, v0
	s_delay_alu instid0(VALU_DEP_1) | instskip(NEXT) | instid1(VALU_DEP_1)
	v_mul_lo_u32 v3, s3, v0
	v_mul_hi_u32 v3, v0, v3
	s_delay_alu instid0(VALU_DEP_1) | instskip(NEXT) | instid1(VALU_DEP_1)
	v_add_nc_u32_e32 v0, v0, v3
	v_mul_hi_u32 v0, v1, v0
	s_delay_alu instid0(VALU_DEP_1) | instskip(SKIP_1) | instid1(VALU_DEP_2)
	v_mul_lo_u32 v3, v0, s6
	v_add_nc_u32_e32 v4, 1, v0
	v_sub_nc_u32_e32 v3, v1, v3
	s_delay_alu instid0(VALU_DEP_1) | instskip(SKIP_1) | instid1(VALU_DEP_2)
	v_subrev_nc_u32_e32 v5, s6, v3
	v_cmp_le_u32_e32 vcc_lo, s6, v3
	v_dual_cndmask_b32 v3, v3, v5 :: v_dual_cndmask_b32 v0, v0, v4
	s_delay_alu instid0(VALU_DEP_1) | instskip(NEXT) | instid1(VALU_DEP_2)
	v_cmp_le_u32_e32 vcc_lo, s6, v3
	v_add_nc_u32_e32 v4, 1, v0
	s_delay_alu instid0(VALU_DEP_1)
	v_dual_cndmask_b32 v3, v0, v4 :: v_dual_mov_b32 v4, 0
.LBB32_5:
	s_or_b32 exec_lo, exec_lo, s2
	s_clause 0x1
	s_load_b128 s[20:23], s[0:1], 0x90
	s_load_b128 s[16:19], s[0:1], 0x38
	v_mul_lo_u32 v0, v4, s6
	v_mul_lo_u32 v6, v3, s7
	v_mad_u64_u32 v[4:5], null, v3, s6, 0
	s_clause 0x1
	s_load_b256 s[4:11], s[0:1], 0x18
	s_load_b64 s[2:3], s[0:1], 0x0
	s_delay_alu instid0(VALU_DEP_1) | instskip(NEXT) | instid1(VALU_DEP_2)
	v_add3_u32 v0, v5, v6, v0
	v_sub_co_u32 v6, vcc_lo, v1, v4
	s_delay_alu instid0(VALU_DEP_2)
	v_sub_co_ci_u32_e32 v2, vcc_lo, v2, v0, vcc_lo
	s_waitcnt lgkmcnt(0)
	s_sub_i32 s7, 0, s20
	s_max_i32 s13, s20, 0
	s_max_i32 s7, s7, 0
	s_sub_i32 s5, 0, s21
	s_sub_i32 s7, s7, s13
	s_add_i32 s4, s20, s4
	s_add_i32 s6, s21, s6
	s_add_i32 s4, s4, -1
	s_add_i32 s6, s6, -1
	v_maxmin_i32 v1, s20, v3, s4
	v_maxmin_i32 v0, s21, v6, s6
	s_max_i32 s12, s21, 0
	s_max_i32 s5, s5, 0
	s_add_i32 s15, s15, s23
	v_add_nc_u32_e32 v4, s7, v1
	s_sub_i32 s6, s5, s12
	s_ashr_i32 s12, s15, 31
	v_add_nc_u32_e32 v7, s6, v0
	s_mul_i32 s5, s8, s12
	v_ashrrev_i32_e32 v0, 31, v4
	s_mul_hi_u32 s21, s8, s15
	s_mul_i32 s9, s9, s15
	s_add_i32 s5, s21, s5
	v_ashrrev_i32_e32 v5, 31, v7
	v_mul_lo_u32 v8, s16, v0
	v_mul_lo_u32 v9, s17, v4
	v_mad_u64_u32 v[0:1], null, s16, v4, 0
	s_add_i32 s5, s5, s9
	s_mul_i32 s4, s8, s15
	s_add_i32 s14, s14, s22
	s_lshl_b64 s[4:5], s[4:5], 3
	v_mul_lo_u32 v10, s18, v5
	v_mul_lo_u32 v11, s19, v7
	v_mad_u64_u32 v[4:5], null, s18, v7, 0
	s_add_u32 s4, s2, s4
	s_addc_u32 s5, s3, s5
	s_ashr_i32 s13, s14, 31
	v_add3_u32 v1, v1, v8, v9
	s_mul_i32 s2, s10, s13
	s_mul_hi_u32 s3, s10, s14
	s_delay_alu instid0(VALU_DEP_2)
	v_add3_u32 v5, v5, v10, v11
	s_add_i32 s2, s3, s2
	s_mul_i32 s3, s11, s14
	v_lshlrev_b64 v[0:1], 3, v[0:1]
	s_add_i32 s3, s2, s3
	s_mul_i32 s2, s10, s14
	v_lshlrev_b64 v[4:5], 3, v[4:5]
	s_lshl_b64 s[2:3], s[2:3], 3
	s_delay_alu instid0(SALU_CYCLE_1) | instskip(SKIP_3) | instid1(VALU_DEP_2)
	s_add_u32 s2, s4, s2
	s_addc_u32 s3, s5, s3
	v_add_co_u32 v0, vcc_lo, s2, v0
	v_add_co_ci_u32_e32 v1, vcc_lo, s3, v1, vcc_lo
	v_add_co_u32 v0, vcc_lo, v0, v4
	s_delay_alu instid0(VALU_DEP_2)
	v_add_co_ci_u32_e32 v1, vcc_lo, v1, v5, vcc_lo
	v_ashrrev_i32_e32 v4, 31, v3
	global_load_b64 v[0:1], v[0:1], off
	s_clause 0x1
	s_load_b256 s[4:11], s[0:1], 0x70
	s_load_b64 s[0:1], s[0:1], 0x48
	s_waitcnt lgkmcnt(0)
	v_mul_lo_u32 v7, s9, v3
	v_mul_lo_u32 v8, s8, v4
	v_mad_u64_u32 v[4:5], null, s8, v3, 0
	s_mul_i32 s2, s4, s12
	s_mul_hi_u32 s3, s4, s15
	v_mul_lo_u32 v9, s11, v6
	s_add_i32 s2, s3, s2
	s_mul_i32 s3, s5, s15
	v_mul_lo_u32 v10, s10, v2
	s_add_i32 s3, s2, s3
	s_mul_i32 s2, s4, s15
	v_mad_u64_u32 v[2:3], null, s10, v6, 0
	s_lshl_b64 s[2:3], s[2:3], 3
	v_add3_u32 v5, v5, v8, v7
	s_add_u32 s2, s0, s2
	s_mul_i32 s0, s6, s13
	s_mul_hi_u32 s4, s6, s14
	s_addc_u32 s3, s1, s3
	s_add_i32 s0, s4, s0
	s_mul_i32 s1, s7, s14
	v_add3_u32 v3, v3, v10, v9
	s_add_i32 s1, s0, s1
	s_mul_i32 s0, s6, s14
	v_lshlrev_b64 v[4:5], 3, v[4:5]
	s_lshl_b64 s[0:1], s[0:1], 3
	v_lshlrev_b64 v[2:3], 3, v[2:3]
	s_add_u32 s0, s2, s0
	s_addc_u32 s1, s3, s1
	s_delay_alu instid0(VALU_DEP_2) | instskip(SKIP_1) | instid1(VALU_DEP_2)
	v_add_co_u32 v4, vcc_lo, s0, v4
	v_add_co_ci_u32_e32 v5, vcc_lo, s1, v5, vcc_lo
	v_add_co_u32 v2, vcc_lo, v4, v2
	s_delay_alu instid0(VALU_DEP_2)
	v_add_co_ci_u32_e32 v3, vcc_lo, v5, v3, vcc_lo
	s_waitcnt vmcnt(0)
	global_store_b64 v[2:3], v[0:1], off
.LBB32_6:
	s_nop 0
	s_sendmsg sendmsg(MSG_DEALLOC_VGPRS)
	s_endpgm
	.section	.rodata,"a",@progbits
	.p2align	6, 0x0
	.amdhsa_kernel _ZN2at6native12_GLOBAL__N_132replication_pad_forward_kernel2dIlEEvN5torch10headeronly6detail27GenericPackedTensorAccessorINS5_14TensorAccessorIN3c108ArrayRefIlEEKT_Lm3ENS4_16DefaultPtrTraitsElEENS_6detail16IndexBoundsCheckILm4ElEESC_Lm4ESD_lEENS6_INS7_ISA_SB_Lm3ESD_lEESH_SB_Lm4ESD_lEEiiii
		.amdhsa_group_segment_fixed_size 0
		.amdhsa_private_segment_fixed_size 0
		.amdhsa_kernarg_size 416
		.amdhsa_user_sgpr_count 13
		.amdhsa_user_sgpr_dispatch_ptr 0
		.amdhsa_user_sgpr_queue_ptr 0
		.amdhsa_user_sgpr_kernarg_segment_ptr 1
		.amdhsa_user_sgpr_dispatch_id 0
		.amdhsa_user_sgpr_private_segment_size 0
		.amdhsa_wavefront_size32 1
		.amdhsa_uses_dynamic_stack 0
		.amdhsa_enable_private_segment 0
		.amdhsa_system_sgpr_workgroup_id_x 1
		.amdhsa_system_sgpr_workgroup_id_y 1
		.amdhsa_system_sgpr_workgroup_id_z 1
		.amdhsa_system_sgpr_workgroup_info 0
		.amdhsa_system_vgpr_workitem_id 0
		.amdhsa_next_free_vgpr 14
		.amdhsa_next_free_sgpr 24
		.amdhsa_reserve_vcc 1
		.amdhsa_float_round_mode_32 0
		.amdhsa_float_round_mode_16_64 0
		.amdhsa_float_denorm_mode_32 3
		.amdhsa_float_denorm_mode_16_64 3
		.amdhsa_dx10_clamp 1
		.amdhsa_ieee_mode 1
		.amdhsa_fp16_overflow 0
		.amdhsa_workgroup_processor_mode 1
		.amdhsa_memory_ordered 1
		.amdhsa_forward_progress 0
		.amdhsa_shared_vgpr_count 0
		.amdhsa_exception_fp_ieee_invalid_op 0
		.amdhsa_exception_fp_denorm_src 0
		.amdhsa_exception_fp_ieee_div_zero 0
		.amdhsa_exception_fp_ieee_overflow 0
		.amdhsa_exception_fp_ieee_underflow 0
		.amdhsa_exception_fp_ieee_inexact 0
		.amdhsa_exception_int_div_zero 0
	.end_amdhsa_kernel
	.section	.text._ZN2at6native12_GLOBAL__N_132replication_pad_forward_kernel2dIlEEvN5torch10headeronly6detail27GenericPackedTensorAccessorINS5_14TensorAccessorIN3c108ArrayRefIlEEKT_Lm3ENS4_16DefaultPtrTraitsElEENS_6detail16IndexBoundsCheckILm4ElEESC_Lm4ESD_lEENS6_INS7_ISA_SB_Lm3ESD_lEESH_SB_Lm4ESD_lEEiiii,"axG",@progbits,_ZN2at6native12_GLOBAL__N_132replication_pad_forward_kernel2dIlEEvN5torch10headeronly6detail27GenericPackedTensorAccessorINS5_14TensorAccessorIN3c108ArrayRefIlEEKT_Lm3ENS4_16DefaultPtrTraitsElEENS_6detail16IndexBoundsCheckILm4ElEESC_Lm4ESD_lEENS6_INS7_ISA_SB_Lm3ESD_lEESH_SB_Lm4ESD_lEEiiii,comdat
.Lfunc_end32:
	.size	_ZN2at6native12_GLOBAL__N_132replication_pad_forward_kernel2dIlEEvN5torch10headeronly6detail27GenericPackedTensorAccessorINS5_14TensorAccessorIN3c108ArrayRefIlEEKT_Lm3ENS4_16DefaultPtrTraitsElEENS_6detail16IndexBoundsCheckILm4ElEESC_Lm4ESD_lEENS6_INS7_ISA_SB_Lm3ESD_lEESH_SB_Lm4ESD_lEEiiii, .Lfunc_end32-_ZN2at6native12_GLOBAL__N_132replication_pad_forward_kernel2dIlEEvN5torch10headeronly6detail27GenericPackedTensorAccessorINS5_14TensorAccessorIN3c108ArrayRefIlEEKT_Lm3ENS4_16DefaultPtrTraitsElEENS_6detail16IndexBoundsCheckILm4ElEESC_Lm4ESD_lEENS6_INS7_ISA_SB_Lm3ESD_lEESH_SB_Lm4ESD_lEEiiii
                                        ; -- End function
	.section	.AMDGPU.csdata,"",@progbits
; Kernel info:
; codeLenInByte = 1716
; NumSgprs: 26
; NumVgprs: 14
; ScratchSize: 0
; MemoryBound: 0
; FloatMode: 240
; IeeeMode: 1
; LDSByteSize: 0 bytes/workgroup (compile time only)
; SGPRBlocks: 3
; VGPRBlocks: 1
; NumSGPRsForWavesPerEU: 26
; NumVGPRsForWavesPerEU: 14
; Occupancy: 16
; WaveLimiterHint : 1
; COMPUTE_PGM_RSRC2:SCRATCH_EN: 0
; COMPUTE_PGM_RSRC2:USER_SGPR: 13
; COMPUTE_PGM_RSRC2:TRAP_HANDLER: 0
; COMPUTE_PGM_RSRC2:TGID_X_EN: 1
; COMPUTE_PGM_RSRC2:TGID_Y_EN: 1
; COMPUTE_PGM_RSRC2:TGID_Z_EN: 1
; COMPUTE_PGM_RSRC2:TIDIG_COMP_CNT: 0
	.section	.text._ZN2at6native12_GLOBAL__N_132replication_pad_forward_kernel2dIsEEvN5torch10headeronly6detail27GenericPackedTensorAccessorINS5_14TensorAccessorIN3c108ArrayRefIlEEKT_Lm3ENS4_16DefaultPtrTraitsElEENS_6detail16IndexBoundsCheckILm4ElEESC_Lm4ESD_lEENS6_INS7_ISA_SB_Lm3ESD_lEESH_SB_Lm4ESD_lEEiiii,"axG",@progbits,_ZN2at6native12_GLOBAL__N_132replication_pad_forward_kernel2dIsEEvN5torch10headeronly6detail27GenericPackedTensorAccessorINS5_14TensorAccessorIN3c108ArrayRefIlEEKT_Lm3ENS4_16DefaultPtrTraitsElEENS_6detail16IndexBoundsCheckILm4ElEESC_Lm4ESD_lEENS6_INS7_ISA_SB_Lm3ESD_lEESH_SB_Lm4ESD_lEEiiii,comdat
	.globl	_ZN2at6native12_GLOBAL__N_132replication_pad_forward_kernel2dIsEEvN5torch10headeronly6detail27GenericPackedTensorAccessorINS5_14TensorAccessorIN3c108ArrayRefIlEEKT_Lm3ENS4_16DefaultPtrTraitsElEENS_6detail16IndexBoundsCheckILm4ElEESC_Lm4ESD_lEENS6_INS7_ISA_SB_Lm3ESD_lEESH_SB_Lm4ESD_lEEiiii ; -- Begin function _ZN2at6native12_GLOBAL__N_132replication_pad_forward_kernel2dIsEEvN5torch10headeronly6detail27GenericPackedTensorAccessorINS5_14TensorAccessorIN3c108ArrayRefIlEEKT_Lm3ENS4_16DefaultPtrTraitsElEENS_6detail16IndexBoundsCheckILm4ElEESC_Lm4ESD_lEENS6_INS7_ISA_SB_Lm3ESD_lEESH_SB_Lm4ESD_lEEiiii
	.p2align	8
	.type	_ZN2at6native12_GLOBAL__N_132replication_pad_forward_kernel2dIsEEvN5torch10headeronly6detail27GenericPackedTensorAccessorINS5_14TensorAccessorIN3c108ArrayRefIlEEKT_Lm3ENS4_16DefaultPtrTraitsElEENS_6detail16IndexBoundsCheckILm4ElEESC_Lm4ESD_lEENS6_INS7_ISA_SB_Lm3ESD_lEESH_SB_Lm4ESD_lEEiiii,@function
_ZN2at6native12_GLOBAL__N_132replication_pad_forward_kernel2dIsEEvN5torch10headeronly6detail27GenericPackedTensorAccessorINS5_14TensorAccessorIN3c108ArrayRefIlEEKT_Lm3ENS4_16DefaultPtrTraitsElEENS_6detail16IndexBoundsCheckILm4ElEESC_Lm4ESD_lEENS6_INS7_ISA_SB_Lm3ESD_lEESH_SB_Lm4ESD_lEEiiii: ; @_ZN2at6native12_GLOBAL__N_132replication_pad_forward_kernel2dIsEEvN5torch10headeronly6detail27GenericPackedTensorAccessorINS5_14TensorAccessorIN3c108ArrayRefIlEEKT_Lm3ENS4_16DefaultPtrTraitsElEENS_6detail16IndexBoundsCheckILm4ElEESC_Lm4ESD_lEENS6_INS7_ISA_SB_Lm3ESD_lEESH_SB_Lm4ESD_lEEiiii
; %bb.0:
	s_clause 0x1
	s_load_b32 s2, s[0:1], 0xac
	s_load_b128 s[4:7], s[0:1], 0x60
	s_waitcnt lgkmcnt(0)
	s_and_b32 s2, s2, 0xffff
	s_mul_hi_u32 s3, s6, s4
	v_mad_u64_u32 v[1:2], null, s13, s2, v[0:1]
	s_mul_i32 s2, s6, s5
	s_delay_alu instid0(SALU_CYCLE_1) | instskip(SKIP_1) | instid1(SALU_CYCLE_1)
	s_add_i32 s2, s3, s2
	s_mul_i32 s3, s7, s4
	s_add_i32 s3, s2, s3
	s_delay_alu instid0(VALU_DEP_1)
	v_ashrrev_i32_e32 v2, 31, v1
	s_mul_i32 s2, s6, s4
	s_delay_alu instid0(VALU_DEP_1) | instid1(SALU_CYCLE_1)
	v_cmp_gt_i64_e32 vcc_lo, s[2:3], v[1:2]
	s_and_saveexec_b32 s2, vcc_lo
	s_cbranch_execz .LBB33_6
; %bb.1:
	v_or_b32_e32 v4, s7, v2
	v_mov_b32_e32 v3, 0
	s_delay_alu instid0(VALU_DEP_1) | instskip(SKIP_1) | instid1(SALU_CYCLE_1)
	v_cmp_ne_u64_e32 vcc_lo, 0, v[3:4]
                                        ; implicit-def: $vgpr3_vgpr4
	s_and_saveexec_b32 s2, vcc_lo
	s_xor_b32 s3, exec_lo, s2
	s_cbranch_execz .LBB33_3
; %bb.2:
	s_ashr_i32 s4, s7, 31
	s_delay_alu instid0(SALU_CYCLE_1) | instskip(SKIP_2) | instid1(SALU_CYCLE_1)
	s_add_u32 s8, s6, s4
	s_mov_b32 s5, s4
	s_addc_u32 s9, s7, s4
	s_xor_b64 s[8:9], s[8:9], s[4:5]
	s_delay_alu instid0(SALU_CYCLE_1) | instskip(SKIP_3) | instid1(VALU_DEP_1)
	v_cvt_f32_u32_e32 v0, s8
	v_cvt_f32_u32_e32 v3, s9
	s_sub_u32 s2, 0, s8
	s_subb_u32 s5, 0, s9
	v_fmamk_f32 v0, v3, 0x4f800000, v0
	s_delay_alu instid0(VALU_DEP_1) | instskip(SKIP_2) | instid1(VALU_DEP_1)
	v_rcp_f32_e32 v0, v0
	s_waitcnt_depctr 0xfff
	v_mul_f32_e32 v0, 0x5f7ffffc, v0
	v_mul_f32_e32 v3, 0x2f800000, v0
	s_delay_alu instid0(VALU_DEP_1) | instskip(NEXT) | instid1(VALU_DEP_1)
	v_trunc_f32_e32 v3, v3
	v_fmamk_f32 v0, v3, 0xcf800000, v0
	v_cvt_u32_f32_e32 v3, v3
	s_delay_alu instid0(VALU_DEP_2) | instskip(NEXT) | instid1(VALU_DEP_2)
	v_cvt_u32_f32_e32 v0, v0
	v_mul_lo_u32 v4, s2, v3
	s_delay_alu instid0(VALU_DEP_2) | instskip(SKIP_1) | instid1(VALU_DEP_2)
	v_mul_hi_u32 v5, s2, v0
	v_mul_lo_u32 v6, s5, v0
	v_add_nc_u32_e32 v4, v5, v4
	v_mul_lo_u32 v5, s2, v0
	s_delay_alu instid0(VALU_DEP_2) | instskip(NEXT) | instid1(VALU_DEP_2)
	v_add_nc_u32_e32 v4, v4, v6
	v_mul_hi_u32 v6, v0, v5
	s_delay_alu instid0(VALU_DEP_2)
	v_mul_lo_u32 v7, v0, v4
	v_mul_hi_u32 v8, v0, v4
	v_mul_hi_u32 v9, v3, v5
	v_mul_lo_u32 v5, v3, v5
	v_mul_hi_u32 v10, v3, v4
	v_mul_lo_u32 v4, v3, v4
	v_add_co_u32 v6, vcc_lo, v6, v7
	v_add_co_ci_u32_e32 v7, vcc_lo, 0, v8, vcc_lo
	s_delay_alu instid0(VALU_DEP_2) | instskip(NEXT) | instid1(VALU_DEP_2)
	v_add_co_u32 v5, vcc_lo, v6, v5
	v_add_co_ci_u32_e32 v5, vcc_lo, v7, v9, vcc_lo
	v_add_co_ci_u32_e32 v6, vcc_lo, 0, v10, vcc_lo
	v_ashrrev_i32_e32 v9, 31, v2
	s_delay_alu instid0(VALU_DEP_3) | instskip(NEXT) | instid1(VALU_DEP_3)
	v_add_co_u32 v4, vcc_lo, v5, v4
	v_add_co_ci_u32_e32 v5, vcc_lo, 0, v6, vcc_lo
	s_delay_alu instid0(VALU_DEP_2) | instskip(NEXT) | instid1(VALU_DEP_2)
	v_add_co_u32 v0, vcc_lo, v0, v4
	v_add_co_ci_u32_e32 v3, vcc_lo, v3, v5, vcc_lo
	s_delay_alu instid0(VALU_DEP_2) | instskip(SKIP_1) | instid1(VALU_DEP_3)
	v_mul_hi_u32 v4, s2, v0
	v_mul_lo_u32 v6, s5, v0
	v_mul_lo_u32 v5, s2, v3
	s_delay_alu instid0(VALU_DEP_1) | instskip(SKIP_1) | instid1(VALU_DEP_2)
	v_add_nc_u32_e32 v4, v4, v5
	v_mul_lo_u32 v5, s2, v0
	v_add_nc_u32_e32 v4, v4, v6
	s_delay_alu instid0(VALU_DEP_2) | instskip(NEXT) | instid1(VALU_DEP_2)
	v_mul_hi_u32 v6, v0, v5
	v_mul_lo_u32 v7, v0, v4
	v_mul_hi_u32 v8, v0, v4
	v_mul_hi_u32 v10, v3, v5
	v_mul_lo_u32 v5, v3, v5
	v_mul_hi_u32 v11, v3, v4
	v_mul_lo_u32 v4, v3, v4
	v_add_co_u32 v6, vcc_lo, v6, v7
	v_add_co_ci_u32_e32 v7, vcc_lo, 0, v8, vcc_lo
	s_delay_alu instid0(VALU_DEP_2) | instskip(NEXT) | instid1(VALU_DEP_2)
	v_add_co_u32 v5, vcc_lo, v6, v5
	v_add_co_ci_u32_e32 v5, vcc_lo, v7, v10, vcc_lo
	v_add_co_ci_u32_e32 v6, vcc_lo, 0, v11, vcc_lo
	v_add_co_u32 v7, vcc_lo, v1, v9
	v_add_co_ci_u32_e32 v8, vcc_lo, v2, v9, vcc_lo
	s_delay_alu instid0(VALU_DEP_4) | instskip(NEXT) | instid1(VALU_DEP_4)
	v_add_co_u32 v4, vcc_lo, v5, v4
	v_add_co_ci_u32_e32 v5, vcc_lo, 0, v6, vcc_lo
	s_delay_alu instid0(VALU_DEP_4) | instskip(NEXT) | instid1(VALU_DEP_3)
	v_xor_b32_e32 v10, v7, v9
	v_add_co_u32 v0, vcc_lo, v0, v4
	s_delay_alu instid0(VALU_DEP_3) | instskip(SKIP_1) | instid1(VALU_DEP_3)
	v_add_co_ci_u32_e32 v11, vcc_lo, v3, v5, vcc_lo
	v_xor_b32_e32 v12, v8, v9
	v_mul_hi_u32 v13, v10, v0
	s_delay_alu instid0(VALU_DEP_3) | instskip(NEXT) | instid1(VALU_DEP_3)
	v_mad_u64_u32 v[3:4], null, v10, v11, 0
	v_mad_u64_u32 v[5:6], null, v12, v0, 0
	;; [unrolled: 1-line block ×3, first 2 shown]
	s_delay_alu instid0(VALU_DEP_3) | instskip(NEXT) | instid1(VALU_DEP_4)
	v_add_co_u32 v0, vcc_lo, v13, v3
	v_add_co_ci_u32_e32 v3, vcc_lo, 0, v4, vcc_lo
	s_delay_alu instid0(VALU_DEP_2) | instskip(NEXT) | instid1(VALU_DEP_2)
	v_add_co_u32 v0, vcc_lo, v0, v5
	v_add_co_ci_u32_e32 v0, vcc_lo, v3, v6, vcc_lo
	v_add_co_ci_u32_e32 v3, vcc_lo, 0, v8, vcc_lo
	s_delay_alu instid0(VALU_DEP_2) | instskip(NEXT) | instid1(VALU_DEP_2)
	v_add_co_u32 v0, vcc_lo, v0, v7
	v_add_co_ci_u32_e32 v5, vcc_lo, 0, v3, vcc_lo
	s_delay_alu instid0(VALU_DEP_2) | instskip(SKIP_1) | instid1(VALU_DEP_3)
	v_mul_lo_u32 v6, s9, v0
	v_mad_u64_u32 v[3:4], null, s8, v0, 0
	v_mul_lo_u32 v7, s8, v5
	s_delay_alu instid0(VALU_DEP_2) | instskip(NEXT) | instid1(VALU_DEP_2)
	v_sub_co_u32 v3, vcc_lo, v10, v3
	v_add3_u32 v4, v4, v7, v6
	s_delay_alu instid0(VALU_DEP_1) | instskip(NEXT) | instid1(VALU_DEP_1)
	v_sub_nc_u32_e32 v6, v12, v4
	v_subrev_co_ci_u32_e64 v6, s2, s9, v6, vcc_lo
	v_add_co_u32 v7, s2, v0, 2
	s_delay_alu instid0(VALU_DEP_1) | instskip(SKIP_3) | instid1(VALU_DEP_3)
	v_add_co_ci_u32_e64 v8, s2, 0, v5, s2
	v_sub_co_u32 v10, s2, v3, s8
	v_sub_co_ci_u32_e32 v4, vcc_lo, v12, v4, vcc_lo
	v_subrev_co_ci_u32_e64 v6, s2, 0, v6, s2
	v_cmp_le_u32_e32 vcc_lo, s8, v10
	s_delay_alu instid0(VALU_DEP_3) | instskip(SKIP_1) | instid1(VALU_DEP_4)
	v_cmp_eq_u32_e64 s2, s9, v4
	v_cndmask_b32_e64 v10, 0, -1, vcc_lo
	v_cmp_le_u32_e32 vcc_lo, s9, v6
	v_cndmask_b32_e64 v11, 0, -1, vcc_lo
	v_cmp_le_u32_e32 vcc_lo, s8, v3
	;; [unrolled: 2-line block ×3, first 2 shown]
	v_cndmask_b32_e64 v12, 0, -1, vcc_lo
	v_cmp_eq_u32_e32 vcc_lo, s9, v6
	s_delay_alu instid0(VALU_DEP_2) | instskip(SKIP_3) | instid1(VALU_DEP_3)
	v_cndmask_b32_e64 v3, v12, v3, s2
	v_cndmask_b32_e32 v6, v11, v10, vcc_lo
	v_add_co_u32 v10, vcc_lo, v0, 1
	v_add_co_ci_u32_e32 v11, vcc_lo, 0, v5, vcc_lo
	v_cmp_ne_u32_e32 vcc_lo, 0, v6
	s_delay_alu instid0(VALU_DEP_2) | instskip(NEXT) | instid1(VALU_DEP_4)
	v_cndmask_b32_e32 v4, v11, v8, vcc_lo
	v_cndmask_b32_e32 v6, v10, v7, vcc_lo
	v_cmp_ne_u32_e32 vcc_lo, 0, v3
	v_xor_b32_e32 v7, s4, v9
	s_delay_alu instid0(VALU_DEP_3) | instskip(NEXT) | instid1(VALU_DEP_1)
	v_dual_cndmask_b32 v0, v0, v6 :: v_dual_cndmask_b32 v3, v5, v4
	v_xor_b32_e32 v0, v0, v7
	s_delay_alu instid0(VALU_DEP_2) | instskip(NEXT) | instid1(VALU_DEP_2)
	v_xor_b32_e32 v4, v3, v7
	v_sub_co_u32 v3, vcc_lo, v0, v7
	s_delay_alu instid0(VALU_DEP_2)
	v_sub_co_ci_u32_e32 v4, vcc_lo, v4, v7, vcc_lo
.LBB33_3:
	s_and_not1_saveexec_b32 s2, s3
	s_cbranch_execz .LBB33_5
; %bb.4:
	v_cvt_f32_u32_e32 v0, s6
	s_sub_i32 s3, 0, s6
	s_delay_alu instid0(VALU_DEP_1) | instskip(SKIP_2) | instid1(VALU_DEP_1)
	v_rcp_iflag_f32_e32 v0, v0
	s_waitcnt_depctr 0xfff
	v_mul_f32_e32 v0, 0x4f7ffffe, v0
	v_cvt_u32_f32_e32 v0, v0
	s_delay_alu instid0(VALU_DEP_1) | instskip(NEXT) | instid1(VALU_DEP_1)
	v_mul_lo_u32 v3, s3, v0
	v_mul_hi_u32 v3, v0, v3
	s_delay_alu instid0(VALU_DEP_1) | instskip(NEXT) | instid1(VALU_DEP_1)
	v_add_nc_u32_e32 v0, v0, v3
	v_mul_hi_u32 v0, v1, v0
	s_delay_alu instid0(VALU_DEP_1) | instskip(SKIP_1) | instid1(VALU_DEP_2)
	v_mul_lo_u32 v3, v0, s6
	v_add_nc_u32_e32 v4, 1, v0
	v_sub_nc_u32_e32 v3, v1, v3
	s_delay_alu instid0(VALU_DEP_1) | instskip(SKIP_1) | instid1(VALU_DEP_2)
	v_subrev_nc_u32_e32 v5, s6, v3
	v_cmp_le_u32_e32 vcc_lo, s6, v3
	v_dual_cndmask_b32 v3, v3, v5 :: v_dual_cndmask_b32 v0, v0, v4
	s_delay_alu instid0(VALU_DEP_1) | instskip(NEXT) | instid1(VALU_DEP_2)
	v_cmp_le_u32_e32 vcc_lo, s6, v3
	v_add_nc_u32_e32 v4, 1, v0
	s_delay_alu instid0(VALU_DEP_1)
	v_dual_cndmask_b32 v3, v0, v4 :: v_dual_mov_b32 v4, 0
.LBB33_5:
	s_or_b32 exec_lo, exec_lo, s2
	s_clause 0x1
	s_load_b128 s[20:23], s[0:1], 0x90
	s_load_b128 s[16:19], s[0:1], 0x38
	v_mul_lo_u32 v0, v4, s6
	v_mul_lo_u32 v6, v3, s7
	v_mad_u64_u32 v[4:5], null, v3, s6, 0
	s_clause 0x1
	s_load_b256 s[4:11], s[0:1], 0x18
	s_load_b64 s[2:3], s[0:1], 0x0
	s_delay_alu instid0(VALU_DEP_1) | instskip(NEXT) | instid1(VALU_DEP_2)
	v_add3_u32 v0, v5, v6, v0
	v_sub_co_u32 v6, vcc_lo, v1, v4
	s_delay_alu instid0(VALU_DEP_2)
	v_sub_co_ci_u32_e32 v2, vcc_lo, v2, v0, vcc_lo
	s_waitcnt lgkmcnt(0)
	s_sub_i32 s7, 0, s20
	s_max_i32 s13, s20, 0
	s_max_i32 s7, s7, 0
	s_sub_i32 s5, 0, s21
	s_sub_i32 s7, s7, s13
	s_add_i32 s4, s20, s4
	s_add_i32 s6, s21, s6
	s_add_i32 s4, s4, -1
	s_add_i32 s6, s6, -1
	v_maxmin_i32 v1, s20, v3, s4
	v_maxmin_i32 v0, s21, v6, s6
	s_max_i32 s12, s21, 0
	s_max_i32 s5, s5, 0
	s_add_i32 s15, s15, s23
	v_add_nc_u32_e32 v4, s7, v1
	s_sub_i32 s6, s5, s12
	s_ashr_i32 s12, s15, 31
	v_add_nc_u32_e32 v7, s6, v0
	s_mul_i32 s5, s8, s12
	v_ashrrev_i32_e32 v0, 31, v4
	s_mul_hi_u32 s21, s8, s15
	s_mul_i32 s9, s9, s15
	s_add_i32 s5, s21, s5
	v_ashrrev_i32_e32 v5, 31, v7
	v_mul_lo_u32 v8, s16, v0
	v_mul_lo_u32 v9, s17, v4
	v_mad_u64_u32 v[0:1], null, s16, v4, 0
	s_add_i32 s5, s5, s9
	s_mul_i32 s4, s8, s15
	s_add_i32 s14, s14, s22
	s_lshl_b64 s[4:5], s[4:5], 1
	v_mul_lo_u32 v10, s18, v5
	v_mul_lo_u32 v11, s19, v7
	v_mad_u64_u32 v[4:5], null, s18, v7, 0
	s_add_u32 s4, s2, s4
	s_addc_u32 s5, s3, s5
	s_ashr_i32 s13, s14, 31
	v_add3_u32 v1, v1, v8, v9
	s_mul_i32 s2, s10, s13
	s_mul_hi_u32 s3, s10, s14
	s_delay_alu instid0(VALU_DEP_2)
	v_add3_u32 v5, v5, v10, v11
	s_add_i32 s2, s3, s2
	s_mul_i32 s3, s11, s14
	v_lshlrev_b64 v[0:1], 1, v[0:1]
	s_add_i32 s3, s2, s3
	s_mul_i32 s2, s10, s14
	v_lshlrev_b64 v[4:5], 1, v[4:5]
	s_lshl_b64 s[2:3], s[2:3], 1
	s_delay_alu instid0(SALU_CYCLE_1) | instskip(SKIP_3) | instid1(VALU_DEP_2)
	s_add_u32 s2, s4, s2
	s_addc_u32 s3, s5, s3
	v_add_co_u32 v0, vcc_lo, s2, v0
	v_add_co_ci_u32_e32 v1, vcc_lo, s3, v1, vcc_lo
	v_add_co_u32 v0, vcc_lo, v0, v4
	s_delay_alu instid0(VALU_DEP_2)
	v_add_co_ci_u32_e32 v1, vcc_lo, v1, v5, vcc_lo
	global_load_u16 v4, v[0:1], off
	s_clause 0x1
	s_load_b256 s[4:11], s[0:1], 0x70
	s_load_b64 s[0:1], s[0:1], 0x48
	v_ashrrev_i32_e32 v0, 31, v3
	s_waitcnt lgkmcnt(0)
	v_mul_lo_u32 v5, s9, v3
	s_delay_alu instid0(VALU_DEP_2)
	v_mul_lo_u32 v7, s8, v0
	v_mad_u64_u32 v[0:1], null, s8, v3, 0
	s_mul_i32 s2, s4, s12
	s_mul_hi_u32 s3, s4, s15
	v_mul_lo_u32 v8, s11, v6
	s_add_i32 s2, s3, s2
	s_mul_i32 s3, s5, s15
	v_mul_lo_u32 v9, s10, v2
	s_add_i32 s3, s2, s3
	s_mul_i32 s2, s4, s15
	v_mad_u64_u32 v[2:3], null, s10, v6, 0
	s_lshl_b64 s[2:3], s[2:3], 1
	v_add3_u32 v1, v1, v7, v5
	s_add_u32 s2, s0, s2
	s_mul_i32 s0, s6, s13
	s_mul_hi_u32 s4, s6, s14
	s_addc_u32 s3, s1, s3
	s_add_i32 s0, s4, s0
	s_mul_i32 s1, s7, s14
	v_add3_u32 v3, v3, v9, v8
	s_add_i32 s1, s0, s1
	s_mul_i32 s0, s6, s14
	v_lshlrev_b64 v[0:1], 1, v[0:1]
	s_lshl_b64 s[0:1], s[0:1], 1
	v_lshlrev_b64 v[2:3], 1, v[2:3]
	s_add_u32 s0, s2, s0
	s_addc_u32 s1, s3, s1
	s_delay_alu instid0(VALU_DEP_2) | instskip(SKIP_1) | instid1(VALU_DEP_2)
	v_add_co_u32 v0, vcc_lo, s0, v0
	v_add_co_ci_u32_e32 v1, vcc_lo, s1, v1, vcc_lo
	v_add_co_u32 v0, vcc_lo, v0, v2
	s_delay_alu instid0(VALU_DEP_2)
	v_add_co_ci_u32_e32 v1, vcc_lo, v1, v3, vcc_lo
	s_waitcnt vmcnt(0)
	global_store_b16 v[0:1], v4, off
.LBB33_6:
	s_nop 0
	s_sendmsg sendmsg(MSG_DEALLOC_VGPRS)
	s_endpgm
	.section	.rodata,"a",@progbits
	.p2align	6, 0x0
	.amdhsa_kernel _ZN2at6native12_GLOBAL__N_132replication_pad_forward_kernel2dIsEEvN5torch10headeronly6detail27GenericPackedTensorAccessorINS5_14TensorAccessorIN3c108ArrayRefIlEEKT_Lm3ENS4_16DefaultPtrTraitsElEENS_6detail16IndexBoundsCheckILm4ElEESC_Lm4ESD_lEENS6_INS7_ISA_SB_Lm3ESD_lEESH_SB_Lm4ESD_lEEiiii
		.amdhsa_group_segment_fixed_size 0
		.amdhsa_private_segment_fixed_size 0
		.amdhsa_kernarg_size 416
		.amdhsa_user_sgpr_count 13
		.amdhsa_user_sgpr_dispatch_ptr 0
		.amdhsa_user_sgpr_queue_ptr 0
		.amdhsa_user_sgpr_kernarg_segment_ptr 1
		.amdhsa_user_sgpr_dispatch_id 0
		.amdhsa_user_sgpr_private_segment_size 0
		.amdhsa_wavefront_size32 1
		.amdhsa_uses_dynamic_stack 0
		.amdhsa_enable_private_segment 0
		.amdhsa_system_sgpr_workgroup_id_x 1
		.amdhsa_system_sgpr_workgroup_id_y 1
		.amdhsa_system_sgpr_workgroup_id_z 1
		.amdhsa_system_sgpr_workgroup_info 0
		.amdhsa_system_vgpr_workitem_id 0
		.amdhsa_next_free_vgpr 14
		.amdhsa_next_free_sgpr 24
		.amdhsa_reserve_vcc 1
		.amdhsa_float_round_mode_32 0
		.amdhsa_float_round_mode_16_64 0
		.amdhsa_float_denorm_mode_32 3
		.amdhsa_float_denorm_mode_16_64 3
		.amdhsa_dx10_clamp 1
		.amdhsa_ieee_mode 1
		.amdhsa_fp16_overflow 0
		.amdhsa_workgroup_processor_mode 1
		.amdhsa_memory_ordered 1
		.amdhsa_forward_progress 0
		.amdhsa_shared_vgpr_count 0
		.amdhsa_exception_fp_ieee_invalid_op 0
		.amdhsa_exception_fp_denorm_src 0
		.amdhsa_exception_fp_ieee_div_zero 0
		.amdhsa_exception_fp_ieee_overflow 0
		.amdhsa_exception_fp_ieee_underflow 0
		.amdhsa_exception_fp_ieee_inexact 0
		.amdhsa_exception_int_div_zero 0
	.end_amdhsa_kernel
	.section	.text._ZN2at6native12_GLOBAL__N_132replication_pad_forward_kernel2dIsEEvN5torch10headeronly6detail27GenericPackedTensorAccessorINS5_14TensorAccessorIN3c108ArrayRefIlEEKT_Lm3ENS4_16DefaultPtrTraitsElEENS_6detail16IndexBoundsCheckILm4ElEESC_Lm4ESD_lEENS6_INS7_ISA_SB_Lm3ESD_lEESH_SB_Lm4ESD_lEEiiii,"axG",@progbits,_ZN2at6native12_GLOBAL__N_132replication_pad_forward_kernel2dIsEEvN5torch10headeronly6detail27GenericPackedTensorAccessorINS5_14TensorAccessorIN3c108ArrayRefIlEEKT_Lm3ENS4_16DefaultPtrTraitsElEENS_6detail16IndexBoundsCheckILm4ElEESC_Lm4ESD_lEENS6_INS7_ISA_SB_Lm3ESD_lEESH_SB_Lm4ESD_lEEiiii,comdat
.Lfunc_end33:
	.size	_ZN2at6native12_GLOBAL__N_132replication_pad_forward_kernel2dIsEEvN5torch10headeronly6detail27GenericPackedTensorAccessorINS5_14TensorAccessorIN3c108ArrayRefIlEEKT_Lm3ENS4_16DefaultPtrTraitsElEENS_6detail16IndexBoundsCheckILm4ElEESC_Lm4ESD_lEENS6_INS7_ISA_SB_Lm3ESD_lEESH_SB_Lm4ESD_lEEiiii, .Lfunc_end33-_ZN2at6native12_GLOBAL__N_132replication_pad_forward_kernel2dIsEEvN5torch10headeronly6detail27GenericPackedTensorAccessorINS5_14TensorAccessorIN3c108ArrayRefIlEEKT_Lm3ENS4_16DefaultPtrTraitsElEENS_6detail16IndexBoundsCheckILm4ElEESC_Lm4ESD_lEENS6_INS7_ISA_SB_Lm3ESD_lEESH_SB_Lm4ESD_lEEiiii
                                        ; -- End function
	.section	.AMDGPU.csdata,"",@progbits
; Kernel info:
; codeLenInByte = 1720
; NumSgprs: 26
; NumVgprs: 14
; ScratchSize: 0
; MemoryBound: 0
; FloatMode: 240
; IeeeMode: 1
; LDSByteSize: 0 bytes/workgroup (compile time only)
; SGPRBlocks: 3
; VGPRBlocks: 1
; NumSGPRsForWavesPerEU: 26
; NumVGPRsForWavesPerEU: 14
; Occupancy: 16
; WaveLimiterHint : 1
; COMPUTE_PGM_RSRC2:SCRATCH_EN: 0
; COMPUTE_PGM_RSRC2:USER_SGPR: 13
; COMPUTE_PGM_RSRC2:TRAP_HANDLER: 0
; COMPUTE_PGM_RSRC2:TGID_X_EN: 1
; COMPUTE_PGM_RSRC2:TGID_Y_EN: 1
; COMPUTE_PGM_RSRC2:TGID_Z_EN: 1
; COMPUTE_PGM_RSRC2:TIDIG_COMP_CNT: 0
	.section	.text._ZN2at6native12_GLOBAL__N_132replication_pad_forward_kernel2dIdEEvN5torch10headeronly6detail27GenericPackedTensorAccessorINS5_14TensorAccessorIN3c108ArrayRefIlEEKT_Lm3ENS4_16DefaultPtrTraitsElEENS_6detail16IndexBoundsCheckILm4ElEESC_Lm4ESD_lEENS6_INS7_ISA_SB_Lm3ESD_lEESH_SB_Lm4ESD_lEEiiii,"axG",@progbits,_ZN2at6native12_GLOBAL__N_132replication_pad_forward_kernel2dIdEEvN5torch10headeronly6detail27GenericPackedTensorAccessorINS5_14TensorAccessorIN3c108ArrayRefIlEEKT_Lm3ENS4_16DefaultPtrTraitsElEENS_6detail16IndexBoundsCheckILm4ElEESC_Lm4ESD_lEENS6_INS7_ISA_SB_Lm3ESD_lEESH_SB_Lm4ESD_lEEiiii,comdat
	.globl	_ZN2at6native12_GLOBAL__N_132replication_pad_forward_kernel2dIdEEvN5torch10headeronly6detail27GenericPackedTensorAccessorINS5_14TensorAccessorIN3c108ArrayRefIlEEKT_Lm3ENS4_16DefaultPtrTraitsElEENS_6detail16IndexBoundsCheckILm4ElEESC_Lm4ESD_lEENS6_INS7_ISA_SB_Lm3ESD_lEESH_SB_Lm4ESD_lEEiiii ; -- Begin function _ZN2at6native12_GLOBAL__N_132replication_pad_forward_kernel2dIdEEvN5torch10headeronly6detail27GenericPackedTensorAccessorINS5_14TensorAccessorIN3c108ArrayRefIlEEKT_Lm3ENS4_16DefaultPtrTraitsElEENS_6detail16IndexBoundsCheckILm4ElEESC_Lm4ESD_lEENS6_INS7_ISA_SB_Lm3ESD_lEESH_SB_Lm4ESD_lEEiiii
	.p2align	8
	.type	_ZN2at6native12_GLOBAL__N_132replication_pad_forward_kernel2dIdEEvN5torch10headeronly6detail27GenericPackedTensorAccessorINS5_14TensorAccessorIN3c108ArrayRefIlEEKT_Lm3ENS4_16DefaultPtrTraitsElEENS_6detail16IndexBoundsCheckILm4ElEESC_Lm4ESD_lEENS6_INS7_ISA_SB_Lm3ESD_lEESH_SB_Lm4ESD_lEEiiii,@function
_ZN2at6native12_GLOBAL__N_132replication_pad_forward_kernel2dIdEEvN5torch10headeronly6detail27GenericPackedTensorAccessorINS5_14TensorAccessorIN3c108ArrayRefIlEEKT_Lm3ENS4_16DefaultPtrTraitsElEENS_6detail16IndexBoundsCheckILm4ElEESC_Lm4ESD_lEENS6_INS7_ISA_SB_Lm3ESD_lEESH_SB_Lm4ESD_lEEiiii: ; @_ZN2at6native12_GLOBAL__N_132replication_pad_forward_kernel2dIdEEvN5torch10headeronly6detail27GenericPackedTensorAccessorINS5_14TensorAccessorIN3c108ArrayRefIlEEKT_Lm3ENS4_16DefaultPtrTraitsElEENS_6detail16IndexBoundsCheckILm4ElEESC_Lm4ESD_lEENS6_INS7_ISA_SB_Lm3ESD_lEESH_SB_Lm4ESD_lEEiiii
; %bb.0:
	s_clause 0x1
	s_load_b32 s2, s[0:1], 0xac
	s_load_b128 s[4:7], s[0:1], 0x60
	s_waitcnt lgkmcnt(0)
	s_and_b32 s2, s2, 0xffff
	s_mul_hi_u32 s3, s6, s4
	v_mad_u64_u32 v[1:2], null, s13, s2, v[0:1]
	s_mul_i32 s2, s6, s5
	s_delay_alu instid0(SALU_CYCLE_1) | instskip(SKIP_1) | instid1(SALU_CYCLE_1)
	s_add_i32 s2, s3, s2
	s_mul_i32 s3, s7, s4
	s_add_i32 s3, s2, s3
	s_delay_alu instid0(VALU_DEP_1)
	v_ashrrev_i32_e32 v2, 31, v1
	s_mul_i32 s2, s6, s4
	s_delay_alu instid0(VALU_DEP_1) | instid1(SALU_CYCLE_1)
	v_cmp_gt_i64_e32 vcc_lo, s[2:3], v[1:2]
	s_and_saveexec_b32 s2, vcc_lo
	s_cbranch_execz .LBB34_6
; %bb.1:
	v_or_b32_e32 v4, s7, v2
	v_mov_b32_e32 v3, 0
	s_delay_alu instid0(VALU_DEP_1) | instskip(SKIP_1) | instid1(SALU_CYCLE_1)
	v_cmp_ne_u64_e32 vcc_lo, 0, v[3:4]
                                        ; implicit-def: $vgpr3_vgpr4
	s_and_saveexec_b32 s2, vcc_lo
	s_xor_b32 s3, exec_lo, s2
	s_cbranch_execz .LBB34_3
; %bb.2:
	s_ashr_i32 s4, s7, 31
	s_delay_alu instid0(SALU_CYCLE_1) | instskip(SKIP_2) | instid1(SALU_CYCLE_1)
	s_add_u32 s8, s6, s4
	s_mov_b32 s5, s4
	s_addc_u32 s9, s7, s4
	s_xor_b64 s[8:9], s[8:9], s[4:5]
	s_delay_alu instid0(SALU_CYCLE_1) | instskip(SKIP_3) | instid1(VALU_DEP_1)
	v_cvt_f32_u32_e32 v0, s8
	v_cvt_f32_u32_e32 v3, s9
	s_sub_u32 s2, 0, s8
	s_subb_u32 s5, 0, s9
	v_fmamk_f32 v0, v3, 0x4f800000, v0
	s_delay_alu instid0(VALU_DEP_1) | instskip(SKIP_2) | instid1(VALU_DEP_1)
	v_rcp_f32_e32 v0, v0
	s_waitcnt_depctr 0xfff
	v_mul_f32_e32 v0, 0x5f7ffffc, v0
	v_mul_f32_e32 v3, 0x2f800000, v0
	s_delay_alu instid0(VALU_DEP_1) | instskip(NEXT) | instid1(VALU_DEP_1)
	v_trunc_f32_e32 v3, v3
	v_fmamk_f32 v0, v3, 0xcf800000, v0
	v_cvt_u32_f32_e32 v3, v3
	s_delay_alu instid0(VALU_DEP_2) | instskip(NEXT) | instid1(VALU_DEP_2)
	v_cvt_u32_f32_e32 v0, v0
	v_mul_lo_u32 v4, s2, v3
	s_delay_alu instid0(VALU_DEP_2) | instskip(SKIP_1) | instid1(VALU_DEP_2)
	v_mul_hi_u32 v5, s2, v0
	v_mul_lo_u32 v6, s5, v0
	v_add_nc_u32_e32 v4, v5, v4
	v_mul_lo_u32 v5, s2, v0
	s_delay_alu instid0(VALU_DEP_2) | instskip(NEXT) | instid1(VALU_DEP_2)
	v_add_nc_u32_e32 v4, v4, v6
	v_mul_hi_u32 v6, v0, v5
	s_delay_alu instid0(VALU_DEP_2)
	v_mul_lo_u32 v7, v0, v4
	v_mul_hi_u32 v8, v0, v4
	v_mul_hi_u32 v9, v3, v5
	v_mul_lo_u32 v5, v3, v5
	v_mul_hi_u32 v10, v3, v4
	v_mul_lo_u32 v4, v3, v4
	v_add_co_u32 v6, vcc_lo, v6, v7
	v_add_co_ci_u32_e32 v7, vcc_lo, 0, v8, vcc_lo
	s_delay_alu instid0(VALU_DEP_2) | instskip(NEXT) | instid1(VALU_DEP_2)
	v_add_co_u32 v5, vcc_lo, v6, v5
	v_add_co_ci_u32_e32 v5, vcc_lo, v7, v9, vcc_lo
	v_add_co_ci_u32_e32 v6, vcc_lo, 0, v10, vcc_lo
	v_ashrrev_i32_e32 v9, 31, v2
	s_delay_alu instid0(VALU_DEP_3) | instskip(NEXT) | instid1(VALU_DEP_3)
	v_add_co_u32 v4, vcc_lo, v5, v4
	v_add_co_ci_u32_e32 v5, vcc_lo, 0, v6, vcc_lo
	s_delay_alu instid0(VALU_DEP_2) | instskip(NEXT) | instid1(VALU_DEP_2)
	v_add_co_u32 v0, vcc_lo, v0, v4
	v_add_co_ci_u32_e32 v3, vcc_lo, v3, v5, vcc_lo
	s_delay_alu instid0(VALU_DEP_2) | instskip(SKIP_1) | instid1(VALU_DEP_3)
	v_mul_hi_u32 v4, s2, v0
	v_mul_lo_u32 v6, s5, v0
	v_mul_lo_u32 v5, s2, v3
	s_delay_alu instid0(VALU_DEP_1) | instskip(SKIP_1) | instid1(VALU_DEP_2)
	v_add_nc_u32_e32 v4, v4, v5
	v_mul_lo_u32 v5, s2, v0
	v_add_nc_u32_e32 v4, v4, v6
	s_delay_alu instid0(VALU_DEP_2) | instskip(NEXT) | instid1(VALU_DEP_2)
	v_mul_hi_u32 v6, v0, v5
	v_mul_lo_u32 v7, v0, v4
	v_mul_hi_u32 v8, v0, v4
	v_mul_hi_u32 v10, v3, v5
	v_mul_lo_u32 v5, v3, v5
	v_mul_hi_u32 v11, v3, v4
	v_mul_lo_u32 v4, v3, v4
	v_add_co_u32 v6, vcc_lo, v6, v7
	v_add_co_ci_u32_e32 v7, vcc_lo, 0, v8, vcc_lo
	s_delay_alu instid0(VALU_DEP_2) | instskip(NEXT) | instid1(VALU_DEP_2)
	v_add_co_u32 v5, vcc_lo, v6, v5
	v_add_co_ci_u32_e32 v5, vcc_lo, v7, v10, vcc_lo
	v_add_co_ci_u32_e32 v6, vcc_lo, 0, v11, vcc_lo
	v_add_co_u32 v7, vcc_lo, v1, v9
	v_add_co_ci_u32_e32 v8, vcc_lo, v2, v9, vcc_lo
	s_delay_alu instid0(VALU_DEP_4) | instskip(NEXT) | instid1(VALU_DEP_4)
	v_add_co_u32 v4, vcc_lo, v5, v4
	v_add_co_ci_u32_e32 v5, vcc_lo, 0, v6, vcc_lo
	s_delay_alu instid0(VALU_DEP_4) | instskip(NEXT) | instid1(VALU_DEP_3)
	v_xor_b32_e32 v10, v7, v9
	v_add_co_u32 v0, vcc_lo, v0, v4
	s_delay_alu instid0(VALU_DEP_3) | instskip(SKIP_1) | instid1(VALU_DEP_3)
	v_add_co_ci_u32_e32 v11, vcc_lo, v3, v5, vcc_lo
	v_xor_b32_e32 v12, v8, v9
	v_mul_hi_u32 v13, v10, v0
	s_delay_alu instid0(VALU_DEP_3) | instskip(NEXT) | instid1(VALU_DEP_3)
	v_mad_u64_u32 v[3:4], null, v10, v11, 0
	v_mad_u64_u32 v[5:6], null, v12, v0, 0
	;; [unrolled: 1-line block ×3, first 2 shown]
	s_delay_alu instid0(VALU_DEP_3) | instskip(NEXT) | instid1(VALU_DEP_4)
	v_add_co_u32 v0, vcc_lo, v13, v3
	v_add_co_ci_u32_e32 v3, vcc_lo, 0, v4, vcc_lo
	s_delay_alu instid0(VALU_DEP_2) | instskip(NEXT) | instid1(VALU_DEP_2)
	v_add_co_u32 v0, vcc_lo, v0, v5
	v_add_co_ci_u32_e32 v0, vcc_lo, v3, v6, vcc_lo
	v_add_co_ci_u32_e32 v3, vcc_lo, 0, v8, vcc_lo
	s_delay_alu instid0(VALU_DEP_2) | instskip(NEXT) | instid1(VALU_DEP_2)
	v_add_co_u32 v0, vcc_lo, v0, v7
	v_add_co_ci_u32_e32 v5, vcc_lo, 0, v3, vcc_lo
	s_delay_alu instid0(VALU_DEP_2) | instskip(SKIP_1) | instid1(VALU_DEP_3)
	v_mul_lo_u32 v6, s9, v0
	v_mad_u64_u32 v[3:4], null, s8, v0, 0
	v_mul_lo_u32 v7, s8, v5
	s_delay_alu instid0(VALU_DEP_2) | instskip(NEXT) | instid1(VALU_DEP_2)
	v_sub_co_u32 v3, vcc_lo, v10, v3
	v_add3_u32 v4, v4, v7, v6
	s_delay_alu instid0(VALU_DEP_1) | instskip(NEXT) | instid1(VALU_DEP_1)
	v_sub_nc_u32_e32 v6, v12, v4
	v_subrev_co_ci_u32_e64 v6, s2, s9, v6, vcc_lo
	v_add_co_u32 v7, s2, v0, 2
	s_delay_alu instid0(VALU_DEP_1) | instskip(SKIP_3) | instid1(VALU_DEP_3)
	v_add_co_ci_u32_e64 v8, s2, 0, v5, s2
	v_sub_co_u32 v10, s2, v3, s8
	v_sub_co_ci_u32_e32 v4, vcc_lo, v12, v4, vcc_lo
	v_subrev_co_ci_u32_e64 v6, s2, 0, v6, s2
	v_cmp_le_u32_e32 vcc_lo, s8, v10
	s_delay_alu instid0(VALU_DEP_3) | instskip(SKIP_1) | instid1(VALU_DEP_4)
	v_cmp_eq_u32_e64 s2, s9, v4
	v_cndmask_b32_e64 v10, 0, -1, vcc_lo
	v_cmp_le_u32_e32 vcc_lo, s9, v6
	v_cndmask_b32_e64 v11, 0, -1, vcc_lo
	v_cmp_le_u32_e32 vcc_lo, s8, v3
	;; [unrolled: 2-line block ×3, first 2 shown]
	v_cndmask_b32_e64 v12, 0, -1, vcc_lo
	v_cmp_eq_u32_e32 vcc_lo, s9, v6
	s_delay_alu instid0(VALU_DEP_2) | instskip(SKIP_3) | instid1(VALU_DEP_3)
	v_cndmask_b32_e64 v3, v12, v3, s2
	v_cndmask_b32_e32 v6, v11, v10, vcc_lo
	v_add_co_u32 v10, vcc_lo, v0, 1
	v_add_co_ci_u32_e32 v11, vcc_lo, 0, v5, vcc_lo
	v_cmp_ne_u32_e32 vcc_lo, 0, v6
	s_delay_alu instid0(VALU_DEP_2) | instskip(NEXT) | instid1(VALU_DEP_4)
	v_cndmask_b32_e32 v4, v11, v8, vcc_lo
	v_cndmask_b32_e32 v6, v10, v7, vcc_lo
	v_cmp_ne_u32_e32 vcc_lo, 0, v3
	v_xor_b32_e32 v7, s4, v9
	s_delay_alu instid0(VALU_DEP_3) | instskip(NEXT) | instid1(VALU_DEP_1)
	v_dual_cndmask_b32 v0, v0, v6 :: v_dual_cndmask_b32 v3, v5, v4
	v_xor_b32_e32 v0, v0, v7
	s_delay_alu instid0(VALU_DEP_2) | instskip(NEXT) | instid1(VALU_DEP_2)
	v_xor_b32_e32 v4, v3, v7
	v_sub_co_u32 v3, vcc_lo, v0, v7
	s_delay_alu instid0(VALU_DEP_2)
	v_sub_co_ci_u32_e32 v4, vcc_lo, v4, v7, vcc_lo
.LBB34_3:
	s_and_not1_saveexec_b32 s2, s3
	s_cbranch_execz .LBB34_5
; %bb.4:
	v_cvt_f32_u32_e32 v0, s6
	s_sub_i32 s3, 0, s6
	s_delay_alu instid0(VALU_DEP_1) | instskip(SKIP_2) | instid1(VALU_DEP_1)
	v_rcp_iflag_f32_e32 v0, v0
	s_waitcnt_depctr 0xfff
	v_mul_f32_e32 v0, 0x4f7ffffe, v0
	v_cvt_u32_f32_e32 v0, v0
	s_delay_alu instid0(VALU_DEP_1) | instskip(NEXT) | instid1(VALU_DEP_1)
	v_mul_lo_u32 v3, s3, v0
	v_mul_hi_u32 v3, v0, v3
	s_delay_alu instid0(VALU_DEP_1) | instskip(NEXT) | instid1(VALU_DEP_1)
	v_add_nc_u32_e32 v0, v0, v3
	v_mul_hi_u32 v0, v1, v0
	s_delay_alu instid0(VALU_DEP_1) | instskip(SKIP_1) | instid1(VALU_DEP_2)
	v_mul_lo_u32 v3, v0, s6
	v_add_nc_u32_e32 v4, 1, v0
	v_sub_nc_u32_e32 v3, v1, v3
	s_delay_alu instid0(VALU_DEP_1) | instskip(SKIP_1) | instid1(VALU_DEP_2)
	v_subrev_nc_u32_e32 v5, s6, v3
	v_cmp_le_u32_e32 vcc_lo, s6, v3
	v_dual_cndmask_b32 v3, v3, v5 :: v_dual_cndmask_b32 v0, v0, v4
	s_delay_alu instid0(VALU_DEP_1) | instskip(NEXT) | instid1(VALU_DEP_2)
	v_cmp_le_u32_e32 vcc_lo, s6, v3
	v_add_nc_u32_e32 v4, 1, v0
	s_delay_alu instid0(VALU_DEP_1)
	v_dual_cndmask_b32 v3, v0, v4 :: v_dual_mov_b32 v4, 0
.LBB34_5:
	s_or_b32 exec_lo, exec_lo, s2
	s_clause 0x1
	s_load_b128 s[20:23], s[0:1], 0x90
	s_load_b128 s[16:19], s[0:1], 0x38
	v_mul_lo_u32 v0, v4, s6
	v_mul_lo_u32 v6, v3, s7
	v_mad_u64_u32 v[4:5], null, v3, s6, 0
	s_clause 0x1
	s_load_b256 s[4:11], s[0:1], 0x18
	s_load_b64 s[2:3], s[0:1], 0x0
	s_delay_alu instid0(VALU_DEP_1) | instskip(NEXT) | instid1(VALU_DEP_2)
	v_add3_u32 v0, v5, v6, v0
	v_sub_co_u32 v6, vcc_lo, v1, v4
	s_delay_alu instid0(VALU_DEP_2)
	v_sub_co_ci_u32_e32 v2, vcc_lo, v2, v0, vcc_lo
	s_waitcnt lgkmcnt(0)
	s_sub_i32 s7, 0, s20
	s_max_i32 s13, s20, 0
	s_max_i32 s7, s7, 0
	s_sub_i32 s5, 0, s21
	s_sub_i32 s7, s7, s13
	s_add_i32 s4, s20, s4
	s_add_i32 s6, s21, s6
	s_add_i32 s4, s4, -1
	s_add_i32 s6, s6, -1
	v_maxmin_i32 v1, s20, v3, s4
	v_maxmin_i32 v0, s21, v6, s6
	s_max_i32 s12, s21, 0
	s_max_i32 s5, s5, 0
	s_add_i32 s15, s15, s23
	v_add_nc_u32_e32 v4, s7, v1
	s_sub_i32 s6, s5, s12
	s_ashr_i32 s12, s15, 31
	v_add_nc_u32_e32 v7, s6, v0
	s_mul_i32 s5, s8, s12
	v_ashrrev_i32_e32 v0, 31, v4
	s_mul_hi_u32 s21, s8, s15
	s_mul_i32 s9, s9, s15
	s_add_i32 s5, s21, s5
	v_ashrrev_i32_e32 v5, 31, v7
	v_mul_lo_u32 v8, s16, v0
	v_mul_lo_u32 v9, s17, v4
	v_mad_u64_u32 v[0:1], null, s16, v4, 0
	s_add_i32 s5, s5, s9
	s_mul_i32 s4, s8, s15
	s_add_i32 s14, s14, s22
	s_lshl_b64 s[4:5], s[4:5], 3
	v_mul_lo_u32 v10, s18, v5
	v_mul_lo_u32 v11, s19, v7
	v_mad_u64_u32 v[4:5], null, s18, v7, 0
	s_add_u32 s4, s2, s4
	s_addc_u32 s5, s3, s5
	s_ashr_i32 s13, s14, 31
	v_add3_u32 v1, v1, v8, v9
	s_mul_i32 s2, s10, s13
	s_mul_hi_u32 s3, s10, s14
	s_delay_alu instid0(VALU_DEP_2)
	v_add3_u32 v5, v5, v10, v11
	s_add_i32 s2, s3, s2
	s_mul_i32 s3, s11, s14
	v_lshlrev_b64 v[0:1], 3, v[0:1]
	s_add_i32 s3, s2, s3
	s_mul_i32 s2, s10, s14
	v_lshlrev_b64 v[4:5], 3, v[4:5]
	s_lshl_b64 s[2:3], s[2:3], 3
	s_delay_alu instid0(SALU_CYCLE_1) | instskip(SKIP_3) | instid1(VALU_DEP_2)
	s_add_u32 s2, s4, s2
	s_addc_u32 s3, s5, s3
	v_add_co_u32 v0, vcc_lo, s2, v0
	v_add_co_ci_u32_e32 v1, vcc_lo, s3, v1, vcc_lo
	v_add_co_u32 v0, vcc_lo, v0, v4
	s_delay_alu instid0(VALU_DEP_2)
	v_add_co_ci_u32_e32 v1, vcc_lo, v1, v5, vcc_lo
	v_ashrrev_i32_e32 v4, 31, v3
	global_load_b64 v[0:1], v[0:1], off
	s_clause 0x1
	s_load_b256 s[4:11], s[0:1], 0x70
	s_load_b64 s[0:1], s[0:1], 0x48
	s_waitcnt lgkmcnt(0)
	v_mul_lo_u32 v7, s9, v3
	v_mul_lo_u32 v8, s8, v4
	v_mad_u64_u32 v[4:5], null, s8, v3, 0
	s_mul_i32 s2, s4, s12
	s_mul_hi_u32 s3, s4, s15
	v_mul_lo_u32 v9, s11, v6
	s_add_i32 s2, s3, s2
	s_mul_i32 s3, s5, s15
	v_mul_lo_u32 v10, s10, v2
	s_add_i32 s3, s2, s3
	s_mul_i32 s2, s4, s15
	v_mad_u64_u32 v[2:3], null, s10, v6, 0
	s_lshl_b64 s[2:3], s[2:3], 3
	v_add3_u32 v5, v5, v8, v7
	s_add_u32 s2, s0, s2
	s_mul_i32 s0, s6, s13
	s_mul_hi_u32 s4, s6, s14
	s_addc_u32 s3, s1, s3
	s_add_i32 s0, s4, s0
	s_mul_i32 s1, s7, s14
	v_add3_u32 v3, v3, v10, v9
	s_add_i32 s1, s0, s1
	s_mul_i32 s0, s6, s14
	v_lshlrev_b64 v[4:5], 3, v[4:5]
	s_lshl_b64 s[0:1], s[0:1], 3
	v_lshlrev_b64 v[2:3], 3, v[2:3]
	s_add_u32 s0, s2, s0
	s_addc_u32 s1, s3, s1
	s_delay_alu instid0(VALU_DEP_2) | instskip(SKIP_1) | instid1(VALU_DEP_2)
	v_add_co_u32 v4, vcc_lo, s0, v4
	v_add_co_ci_u32_e32 v5, vcc_lo, s1, v5, vcc_lo
	v_add_co_u32 v2, vcc_lo, v4, v2
	s_delay_alu instid0(VALU_DEP_2)
	v_add_co_ci_u32_e32 v3, vcc_lo, v5, v3, vcc_lo
	s_waitcnt vmcnt(0)
	global_store_b64 v[2:3], v[0:1], off
.LBB34_6:
	s_nop 0
	s_sendmsg sendmsg(MSG_DEALLOC_VGPRS)
	s_endpgm
	.section	.rodata,"a",@progbits
	.p2align	6, 0x0
	.amdhsa_kernel _ZN2at6native12_GLOBAL__N_132replication_pad_forward_kernel2dIdEEvN5torch10headeronly6detail27GenericPackedTensorAccessorINS5_14TensorAccessorIN3c108ArrayRefIlEEKT_Lm3ENS4_16DefaultPtrTraitsElEENS_6detail16IndexBoundsCheckILm4ElEESC_Lm4ESD_lEENS6_INS7_ISA_SB_Lm3ESD_lEESH_SB_Lm4ESD_lEEiiii
		.amdhsa_group_segment_fixed_size 0
		.amdhsa_private_segment_fixed_size 0
		.amdhsa_kernarg_size 416
		.amdhsa_user_sgpr_count 13
		.amdhsa_user_sgpr_dispatch_ptr 0
		.amdhsa_user_sgpr_queue_ptr 0
		.amdhsa_user_sgpr_kernarg_segment_ptr 1
		.amdhsa_user_sgpr_dispatch_id 0
		.amdhsa_user_sgpr_private_segment_size 0
		.amdhsa_wavefront_size32 1
		.amdhsa_uses_dynamic_stack 0
		.amdhsa_enable_private_segment 0
		.amdhsa_system_sgpr_workgroup_id_x 1
		.amdhsa_system_sgpr_workgroup_id_y 1
		.amdhsa_system_sgpr_workgroup_id_z 1
		.amdhsa_system_sgpr_workgroup_info 0
		.amdhsa_system_vgpr_workitem_id 0
		.amdhsa_next_free_vgpr 14
		.amdhsa_next_free_sgpr 24
		.amdhsa_reserve_vcc 1
		.amdhsa_float_round_mode_32 0
		.amdhsa_float_round_mode_16_64 0
		.amdhsa_float_denorm_mode_32 3
		.amdhsa_float_denorm_mode_16_64 3
		.amdhsa_dx10_clamp 1
		.amdhsa_ieee_mode 1
		.amdhsa_fp16_overflow 0
		.amdhsa_workgroup_processor_mode 1
		.amdhsa_memory_ordered 1
		.amdhsa_forward_progress 0
		.amdhsa_shared_vgpr_count 0
		.amdhsa_exception_fp_ieee_invalid_op 0
		.amdhsa_exception_fp_denorm_src 0
		.amdhsa_exception_fp_ieee_div_zero 0
		.amdhsa_exception_fp_ieee_overflow 0
		.amdhsa_exception_fp_ieee_underflow 0
		.amdhsa_exception_fp_ieee_inexact 0
		.amdhsa_exception_int_div_zero 0
	.end_amdhsa_kernel
	.section	.text._ZN2at6native12_GLOBAL__N_132replication_pad_forward_kernel2dIdEEvN5torch10headeronly6detail27GenericPackedTensorAccessorINS5_14TensorAccessorIN3c108ArrayRefIlEEKT_Lm3ENS4_16DefaultPtrTraitsElEENS_6detail16IndexBoundsCheckILm4ElEESC_Lm4ESD_lEENS6_INS7_ISA_SB_Lm3ESD_lEESH_SB_Lm4ESD_lEEiiii,"axG",@progbits,_ZN2at6native12_GLOBAL__N_132replication_pad_forward_kernel2dIdEEvN5torch10headeronly6detail27GenericPackedTensorAccessorINS5_14TensorAccessorIN3c108ArrayRefIlEEKT_Lm3ENS4_16DefaultPtrTraitsElEENS_6detail16IndexBoundsCheckILm4ElEESC_Lm4ESD_lEENS6_INS7_ISA_SB_Lm3ESD_lEESH_SB_Lm4ESD_lEEiiii,comdat
.Lfunc_end34:
	.size	_ZN2at6native12_GLOBAL__N_132replication_pad_forward_kernel2dIdEEvN5torch10headeronly6detail27GenericPackedTensorAccessorINS5_14TensorAccessorIN3c108ArrayRefIlEEKT_Lm3ENS4_16DefaultPtrTraitsElEENS_6detail16IndexBoundsCheckILm4ElEESC_Lm4ESD_lEENS6_INS7_ISA_SB_Lm3ESD_lEESH_SB_Lm4ESD_lEEiiii, .Lfunc_end34-_ZN2at6native12_GLOBAL__N_132replication_pad_forward_kernel2dIdEEvN5torch10headeronly6detail27GenericPackedTensorAccessorINS5_14TensorAccessorIN3c108ArrayRefIlEEKT_Lm3ENS4_16DefaultPtrTraitsElEENS_6detail16IndexBoundsCheckILm4ElEESC_Lm4ESD_lEENS6_INS7_ISA_SB_Lm3ESD_lEESH_SB_Lm4ESD_lEEiiii
                                        ; -- End function
	.section	.AMDGPU.csdata,"",@progbits
; Kernel info:
; codeLenInByte = 1716
; NumSgprs: 26
; NumVgprs: 14
; ScratchSize: 0
; MemoryBound: 0
; FloatMode: 240
; IeeeMode: 1
; LDSByteSize: 0 bytes/workgroup (compile time only)
; SGPRBlocks: 3
; VGPRBlocks: 1
; NumSGPRsForWavesPerEU: 26
; NumVGPRsForWavesPerEU: 14
; Occupancy: 16
; WaveLimiterHint : 1
; COMPUTE_PGM_RSRC2:SCRATCH_EN: 0
; COMPUTE_PGM_RSRC2:USER_SGPR: 13
; COMPUTE_PGM_RSRC2:TRAP_HANDLER: 0
; COMPUTE_PGM_RSRC2:TGID_X_EN: 1
; COMPUTE_PGM_RSRC2:TGID_Y_EN: 1
; COMPUTE_PGM_RSRC2:TGID_Z_EN: 1
; COMPUTE_PGM_RSRC2:TIDIG_COMP_CNT: 0
	.section	.text._ZN2at6native12_GLOBAL__N_132replication_pad_forward_kernel2dIfEEvN5torch10headeronly6detail27GenericPackedTensorAccessorINS5_14TensorAccessorIN3c108ArrayRefIlEEKT_Lm3ENS4_16DefaultPtrTraitsElEENS_6detail16IndexBoundsCheckILm4ElEESC_Lm4ESD_lEENS6_INS7_ISA_SB_Lm3ESD_lEESH_SB_Lm4ESD_lEEiiii,"axG",@progbits,_ZN2at6native12_GLOBAL__N_132replication_pad_forward_kernel2dIfEEvN5torch10headeronly6detail27GenericPackedTensorAccessorINS5_14TensorAccessorIN3c108ArrayRefIlEEKT_Lm3ENS4_16DefaultPtrTraitsElEENS_6detail16IndexBoundsCheckILm4ElEESC_Lm4ESD_lEENS6_INS7_ISA_SB_Lm3ESD_lEESH_SB_Lm4ESD_lEEiiii,comdat
	.globl	_ZN2at6native12_GLOBAL__N_132replication_pad_forward_kernel2dIfEEvN5torch10headeronly6detail27GenericPackedTensorAccessorINS5_14TensorAccessorIN3c108ArrayRefIlEEKT_Lm3ENS4_16DefaultPtrTraitsElEENS_6detail16IndexBoundsCheckILm4ElEESC_Lm4ESD_lEENS6_INS7_ISA_SB_Lm3ESD_lEESH_SB_Lm4ESD_lEEiiii ; -- Begin function _ZN2at6native12_GLOBAL__N_132replication_pad_forward_kernel2dIfEEvN5torch10headeronly6detail27GenericPackedTensorAccessorINS5_14TensorAccessorIN3c108ArrayRefIlEEKT_Lm3ENS4_16DefaultPtrTraitsElEENS_6detail16IndexBoundsCheckILm4ElEESC_Lm4ESD_lEENS6_INS7_ISA_SB_Lm3ESD_lEESH_SB_Lm4ESD_lEEiiii
	.p2align	8
	.type	_ZN2at6native12_GLOBAL__N_132replication_pad_forward_kernel2dIfEEvN5torch10headeronly6detail27GenericPackedTensorAccessorINS5_14TensorAccessorIN3c108ArrayRefIlEEKT_Lm3ENS4_16DefaultPtrTraitsElEENS_6detail16IndexBoundsCheckILm4ElEESC_Lm4ESD_lEENS6_INS7_ISA_SB_Lm3ESD_lEESH_SB_Lm4ESD_lEEiiii,@function
_ZN2at6native12_GLOBAL__N_132replication_pad_forward_kernel2dIfEEvN5torch10headeronly6detail27GenericPackedTensorAccessorINS5_14TensorAccessorIN3c108ArrayRefIlEEKT_Lm3ENS4_16DefaultPtrTraitsElEENS_6detail16IndexBoundsCheckILm4ElEESC_Lm4ESD_lEENS6_INS7_ISA_SB_Lm3ESD_lEESH_SB_Lm4ESD_lEEiiii: ; @_ZN2at6native12_GLOBAL__N_132replication_pad_forward_kernel2dIfEEvN5torch10headeronly6detail27GenericPackedTensorAccessorINS5_14TensorAccessorIN3c108ArrayRefIlEEKT_Lm3ENS4_16DefaultPtrTraitsElEENS_6detail16IndexBoundsCheckILm4ElEESC_Lm4ESD_lEENS6_INS7_ISA_SB_Lm3ESD_lEESH_SB_Lm4ESD_lEEiiii
; %bb.0:
	s_clause 0x1
	s_load_b32 s2, s[0:1], 0xac
	s_load_b128 s[4:7], s[0:1], 0x60
	s_waitcnt lgkmcnt(0)
	s_and_b32 s2, s2, 0xffff
	s_mul_hi_u32 s3, s6, s4
	v_mad_u64_u32 v[1:2], null, s13, s2, v[0:1]
	s_mul_i32 s2, s6, s5
	s_delay_alu instid0(SALU_CYCLE_1) | instskip(SKIP_1) | instid1(SALU_CYCLE_1)
	s_add_i32 s2, s3, s2
	s_mul_i32 s3, s7, s4
	s_add_i32 s3, s2, s3
	s_delay_alu instid0(VALU_DEP_1)
	v_ashrrev_i32_e32 v2, 31, v1
	s_mul_i32 s2, s6, s4
	s_delay_alu instid0(VALU_DEP_1) | instid1(SALU_CYCLE_1)
	v_cmp_gt_i64_e32 vcc_lo, s[2:3], v[1:2]
	s_and_saveexec_b32 s2, vcc_lo
	s_cbranch_execz .LBB35_6
; %bb.1:
	v_or_b32_e32 v4, s7, v2
	v_mov_b32_e32 v3, 0
	s_delay_alu instid0(VALU_DEP_1) | instskip(SKIP_1) | instid1(SALU_CYCLE_1)
	v_cmp_ne_u64_e32 vcc_lo, 0, v[3:4]
                                        ; implicit-def: $vgpr3_vgpr4
	s_and_saveexec_b32 s2, vcc_lo
	s_xor_b32 s3, exec_lo, s2
	s_cbranch_execz .LBB35_3
; %bb.2:
	s_ashr_i32 s4, s7, 31
	s_delay_alu instid0(SALU_CYCLE_1) | instskip(SKIP_2) | instid1(SALU_CYCLE_1)
	s_add_u32 s8, s6, s4
	s_mov_b32 s5, s4
	s_addc_u32 s9, s7, s4
	s_xor_b64 s[8:9], s[8:9], s[4:5]
	s_delay_alu instid0(SALU_CYCLE_1) | instskip(SKIP_3) | instid1(VALU_DEP_1)
	v_cvt_f32_u32_e32 v0, s8
	v_cvt_f32_u32_e32 v3, s9
	s_sub_u32 s2, 0, s8
	s_subb_u32 s5, 0, s9
	v_fmamk_f32 v0, v3, 0x4f800000, v0
	s_delay_alu instid0(VALU_DEP_1) | instskip(SKIP_2) | instid1(VALU_DEP_1)
	v_rcp_f32_e32 v0, v0
	s_waitcnt_depctr 0xfff
	v_mul_f32_e32 v0, 0x5f7ffffc, v0
	v_mul_f32_e32 v3, 0x2f800000, v0
	s_delay_alu instid0(VALU_DEP_1) | instskip(NEXT) | instid1(VALU_DEP_1)
	v_trunc_f32_e32 v3, v3
	v_fmamk_f32 v0, v3, 0xcf800000, v0
	v_cvt_u32_f32_e32 v3, v3
	s_delay_alu instid0(VALU_DEP_2) | instskip(NEXT) | instid1(VALU_DEP_2)
	v_cvt_u32_f32_e32 v0, v0
	v_mul_lo_u32 v4, s2, v3
	s_delay_alu instid0(VALU_DEP_2) | instskip(SKIP_1) | instid1(VALU_DEP_2)
	v_mul_hi_u32 v5, s2, v0
	v_mul_lo_u32 v6, s5, v0
	v_add_nc_u32_e32 v4, v5, v4
	v_mul_lo_u32 v5, s2, v0
	s_delay_alu instid0(VALU_DEP_2) | instskip(NEXT) | instid1(VALU_DEP_2)
	v_add_nc_u32_e32 v4, v4, v6
	v_mul_hi_u32 v6, v0, v5
	s_delay_alu instid0(VALU_DEP_2)
	v_mul_lo_u32 v7, v0, v4
	v_mul_hi_u32 v8, v0, v4
	v_mul_hi_u32 v9, v3, v5
	v_mul_lo_u32 v5, v3, v5
	v_mul_hi_u32 v10, v3, v4
	v_mul_lo_u32 v4, v3, v4
	v_add_co_u32 v6, vcc_lo, v6, v7
	v_add_co_ci_u32_e32 v7, vcc_lo, 0, v8, vcc_lo
	s_delay_alu instid0(VALU_DEP_2) | instskip(NEXT) | instid1(VALU_DEP_2)
	v_add_co_u32 v5, vcc_lo, v6, v5
	v_add_co_ci_u32_e32 v5, vcc_lo, v7, v9, vcc_lo
	v_add_co_ci_u32_e32 v6, vcc_lo, 0, v10, vcc_lo
	v_ashrrev_i32_e32 v9, 31, v2
	s_delay_alu instid0(VALU_DEP_3) | instskip(NEXT) | instid1(VALU_DEP_3)
	v_add_co_u32 v4, vcc_lo, v5, v4
	v_add_co_ci_u32_e32 v5, vcc_lo, 0, v6, vcc_lo
	s_delay_alu instid0(VALU_DEP_2) | instskip(NEXT) | instid1(VALU_DEP_2)
	v_add_co_u32 v0, vcc_lo, v0, v4
	v_add_co_ci_u32_e32 v3, vcc_lo, v3, v5, vcc_lo
	s_delay_alu instid0(VALU_DEP_2) | instskip(SKIP_1) | instid1(VALU_DEP_3)
	v_mul_hi_u32 v4, s2, v0
	v_mul_lo_u32 v6, s5, v0
	v_mul_lo_u32 v5, s2, v3
	s_delay_alu instid0(VALU_DEP_1) | instskip(SKIP_1) | instid1(VALU_DEP_2)
	v_add_nc_u32_e32 v4, v4, v5
	v_mul_lo_u32 v5, s2, v0
	v_add_nc_u32_e32 v4, v4, v6
	s_delay_alu instid0(VALU_DEP_2) | instskip(NEXT) | instid1(VALU_DEP_2)
	v_mul_hi_u32 v6, v0, v5
	v_mul_lo_u32 v7, v0, v4
	v_mul_hi_u32 v8, v0, v4
	v_mul_hi_u32 v10, v3, v5
	v_mul_lo_u32 v5, v3, v5
	v_mul_hi_u32 v11, v3, v4
	v_mul_lo_u32 v4, v3, v4
	v_add_co_u32 v6, vcc_lo, v6, v7
	v_add_co_ci_u32_e32 v7, vcc_lo, 0, v8, vcc_lo
	s_delay_alu instid0(VALU_DEP_2) | instskip(NEXT) | instid1(VALU_DEP_2)
	v_add_co_u32 v5, vcc_lo, v6, v5
	v_add_co_ci_u32_e32 v5, vcc_lo, v7, v10, vcc_lo
	v_add_co_ci_u32_e32 v6, vcc_lo, 0, v11, vcc_lo
	v_add_co_u32 v7, vcc_lo, v1, v9
	v_add_co_ci_u32_e32 v8, vcc_lo, v2, v9, vcc_lo
	s_delay_alu instid0(VALU_DEP_4) | instskip(NEXT) | instid1(VALU_DEP_4)
	v_add_co_u32 v4, vcc_lo, v5, v4
	v_add_co_ci_u32_e32 v5, vcc_lo, 0, v6, vcc_lo
	s_delay_alu instid0(VALU_DEP_4) | instskip(NEXT) | instid1(VALU_DEP_3)
	v_xor_b32_e32 v10, v7, v9
	v_add_co_u32 v0, vcc_lo, v0, v4
	s_delay_alu instid0(VALU_DEP_3) | instskip(SKIP_1) | instid1(VALU_DEP_3)
	v_add_co_ci_u32_e32 v11, vcc_lo, v3, v5, vcc_lo
	v_xor_b32_e32 v12, v8, v9
	v_mul_hi_u32 v13, v10, v0
	s_delay_alu instid0(VALU_DEP_3) | instskip(NEXT) | instid1(VALU_DEP_3)
	v_mad_u64_u32 v[3:4], null, v10, v11, 0
	v_mad_u64_u32 v[5:6], null, v12, v0, 0
	v_mad_u64_u32 v[7:8], null, v12, v11, 0
	s_delay_alu instid0(VALU_DEP_3) | instskip(NEXT) | instid1(VALU_DEP_4)
	v_add_co_u32 v0, vcc_lo, v13, v3
	v_add_co_ci_u32_e32 v3, vcc_lo, 0, v4, vcc_lo
	s_delay_alu instid0(VALU_DEP_2) | instskip(NEXT) | instid1(VALU_DEP_2)
	v_add_co_u32 v0, vcc_lo, v0, v5
	v_add_co_ci_u32_e32 v0, vcc_lo, v3, v6, vcc_lo
	v_add_co_ci_u32_e32 v3, vcc_lo, 0, v8, vcc_lo
	s_delay_alu instid0(VALU_DEP_2) | instskip(NEXT) | instid1(VALU_DEP_2)
	v_add_co_u32 v0, vcc_lo, v0, v7
	v_add_co_ci_u32_e32 v5, vcc_lo, 0, v3, vcc_lo
	s_delay_alu instid0(VALU_DEP_2) | instskip(SKIP_1) | instid1(VALU_DEP_3)
	v_mul_lo_u32 v6, s9, v0
	v_mad_u64_u32 v[3:4], null, s8, v0, 0
	v_mul_lo_u32 v7, s8, v5
	s_delay_alu instid0(VALU_DEP_2) | instskip(NEXT) | instid1(VALU_DEP_2)
	v_sub_co_u32 v3, vcc_lo, v10, v3
	v_add3_u32 v4, v4, v7, v6
	s_delay_alu instid0(VALU_DEP_1) | instskip(NEXT) | instid1(VALU_DEP_1)
	v_sub_nc_u32_e32 v6, v12, v4
	v_subrev_co_ci_u32_e64 v6, s2, s9, v6, vcc_lo
	v_add_co_u32 v7, s2, v0, 2
	s_delay_alu instid0(VALU_DEP_1) | instskip(SKIP_3) | instid1(VALU_DEP_3)
	v_add_co_ci_u32_e64 v8, s2, 0, v5, s2
	v_sub_co_u32 v10, s2, v3, s8
	v_sub_co_ci_u32_e32 v4, vcc_lo, v12, v4, vcc_lo
	v_subrev_co_ci_u32_e64 v6, s2, 0, v6, s2
	v_cmp_le_u32_e32 vcc_lo, s8, v10
	s_delay_alu instid0(VALU_DEP_3) | instskip(SKIP_1) | instid1(VALU_DEP_4)
	v_cmp_eq_u32_e64 s2, s9, v4
	v_cndmask_b32_e64 v10, 0, -1, vcc_lo
	v_cmp_le_u32_e32 vcc_lo, s9, v6
	v_cndmask_b32_e64 v11, 0, -1, vcc_lo
	v_cmp_le_u32_e32 vcc_lo, s8, v3
	;; [unrolled: 2-line block ×3, first 2 shown]
	v_cndmask_b32_e64 v12, 0, -1, vcc_lo
	v_cmp_eq_u32_e32 vcc_lo, s9, v6
	s_delay_alu instid0(VALU_DEP_2) | instskip(SKIP_3) | instid1(VALU_DEP_3)
	v_cndmask_b32_e64 v3, v12, v3, s2
	v_cndmask_b32_e32 v6, v11, v10, vcc_lo
	v_add_co_u32 v10, vcc_lo, v0, 1
	v_add_co_ci_u32_e32 v11, vcc_lo, 0, v5, vcc_lo
	v_cmp_ne_u32_e32 vcc_lo, 0, v6
	s_delay_alu instid0(VALU_DEP_2) | instskip(NEXT) | instid1(VALU_DEP_4)
	v_cndmask_b32_e32 v4, v11, v8, vcc_lo
	v_cndmask_b32_e32 v6, v10, v7, vcc_lo
	v_cmp_ne_u32_e32 vcc_lo, 0, v3
	v_xor_b32_e32 v7, s4, v9
	s_delay_alu instid0(VALU_DEP_3) | instskip(NEXT) | instid1(VALU_DEP_1)
	v_dual_cndmask_b32 v0, v0, v6 :: v_dual_cndmask_b32 v3, v5, v4
	v_xor_b32_e32 v0, v0, v7
	s_delay_alu instid0(VALU_DEP_2) | instskip(NEXT) | instid1(VALU_DEP_2)
	v_xor_b32_e32 v4, v3, v7
	v_sub_co_u32 v3, vcc_lo, v0, v7
	s_delay_alu instid0(VALU_DEP_2)
	v_sub_co_ci_u32_e32 v4, vcc_lo, v4, v7, vcc_lo
.LBB35_3:
	s_and_not1_saveexec_b32 s2, s3
	s_cbranch_execz .LBB35_5
; %bb.4:
	v_cvt_f32_u32_e32 v0, s6
	s_sub_i32 s3, 0, s6
	s_delay_alu instid0(VALU_DEP_1) | instskip(SKIP_2) | instid1(VALU_DEP_1)
	v_rcp_iflag_f32_e32 v0, v0
	s_waitcnt_depctr 0xfff
	v_mul_f32_e32 v0, 0x4f7ffffe, v0
	v_cvt_u32_f32_e32 v0, v0
	s_delay_alu instid0(VALU_DEP_1) | instskip(NEXT) | instid1(VALU_DEP_1)
	v_mul_lo_u32 v3, s3, v0
	v_mul_hi_u32 v3, v0, v3
	s_delay_alu instid0(VALU_DEP_1) | instskip(NEXT) | instid1(VALU_DEP_1)
	v_add_nc_u32_e32 v0, v0, v3
	v_mul_hi_u32 v0, v1, v0
	s_delay_alu instid0(VALU_DEP_1) | instskip(SKIP_1) | instid1(VALU_DEP_2)
	v_mul_lo_u32 v3, v0, s6
	v_add_nc_u32_e32 v4, 1, v0
	v_sub_nc_u32_e32 v3, v1, v3
	s_delay_alu instid0(VALU_DEP_1) | instskip(SKIP_1) | instid1(VALU_DEP_2)
	v_subrev_nc_u32_e32 v5, s6, v3
	v_cmp_le_u32_e32 vcc_lo, s6, v3
	v_dual_cndmask_b32 v3, v3, v5 :: v_dual_cndmask_b32 v0, v0, v4
	s_delay_alu instid0(VALU_DEP_1) | instskip(NEXT) | instid1(VALU_DEP_2)
	v_cmp_le_u32_e32 vcc_lo, s6, v3
	v_add_nc_u32_e32 v4, 1, v0
	s_delay_alu instid0(VALU_DEP_1)
	v_dual_cndmask_b32 v3, v0, v4 :: v_dual_mov_b32 v4, 0
.LBB35_5:
	s_or_b32 exec_lo, exec_lo, s2
	s_clause 0x1
	s_load_b128 s[20:23], s[0:1], 0x90
	s_load_b128 s[16:19], s[0:1], 0x38
	v_mul_lo_u32 v0, v4, s6
	v_mul_lo_u32 v6, v3, s7
	v_mad_u64_u32 v[4:5], null, v3, s6, 0
	s_clause 0x1
	s_load_b256 s[4:11], s[0:1], 0x18
	s_load_b64 s[2:3], s[0:1], 0x0
	s_delay_alu instid0(VALU_DEP_1) | instskip(NEXT) | instid1(VALU_DEP_2)
	v_add3_u32 v0, v5, v6, v0
	v_sub_co_u32 v6, vcc_lo, v1, v4
	s_delay_alu instid0(VALU_DEP_2)
	v_sub_co_ci_u32_e32 v2, vcc_lo, v2, v0, vcc_lo
	s_waitcnt lgkmcnt(0)
	s_sub_i32 s7, 0, s20
	s_max_i32 s13, s20, 0
	s_max_i32 s7, s7, 0
	s_sub_i32 s5, 0, s21
	s_sub_i32 s7, s7, s13
	s_add_i32 s4, s20, s4
	s_add_i32 s6, s21, s6
	s_add_i32 s4, s4, -1
	s_add_i32 s6, s6, -1
	v_maxmin_i32 v1, s20, v3, s4
	v_maxmin_i32 v0, s21, v6, s6
	s_max_i32 s12, s21, 0
	s_max_i32 s5, s5, 0
	s_add_i32 s15, s15, s23
	v_add_nc_u32_e32 v4, s7, v1
	s_sub_i32 s6, s5, s12
	s_ashr_i32 s12, s15, 31
	v_add_nc_u32_e32 v7, s6, v0
	s_mul_i32 s5, s8, s12
	v_ashrrev_i32_e32 v0, 31, v4
	s_mul_hi_u32 s21, s8, s15
	s_mul_i32 s9, s9, s15
	s_add_i32 s5, s21, s5
	v_ashrrev_i32_e32 v5, 31, v7
	v_mul_lo_u32 v8, s16, v0
	v_mul_lo_u32 v9, s17, v4
	v_mad_u64_u32 v[0:1], null, s16, v4, 0
	s_add_i32 s5, s5, s9
	s_mul_i32 s4, s8, s15
	s_add_i32 s14, s14, s22
	s_lshl_b64 s[4:5], s[4:5], 2
	v_mul_lo_u32 v10, s18, v5
	v_mul_lo_u32 v11, s19, v7
	v_mad_u64_u32 v[4:5], null, s18, v7, 0
	s_add_u32 s4, s2, s4
	s_addc_u32 s5, s3, s5
	s_ashr_i32 s13, s14, 31
	v_add3_u32 v1, v1, v8, v9
	s_mul_i32 s2, s10, s13
	s_mul_hi_u32 s3, s10, s14
	s_delay_alu instid0(VALU_DEP_2)
	v_add3_u32 v5, v5, v10, v11
	s_add_i32 s2, s3, s2
	s_mul_i32 s3, s11, s14
	v_lshlrev_b64 v[0:1], 2, v[0:1]
	s_add_i32 s3, s2, s3
	s_mul_i32 s2, s10, s14
	v_lshlrev_b64 v[4:5], 2, v[4:5]
	s_lshl_b64 s[2:3], s[2:3], 2
	s_delay_alu instid0(SALU_CYCLE_1) | instskip(SKIP_3) | instid1(VALU_DEP_2)
	s_add_u32 s2, s4, s2
	s_addc_u32 s3, s5, s3
	v_add_co_u32 v0, vcc_lo, s2, v0
	v_add_co_ci_u32_e32 v1, vcc_lo, s3, v1, vcc_lo
	v_add_co_u32 v0, vcc_lo, v0, v4
	s_delay_alu instid0(VALU_DEP_2)
	v_add_co_ci_u32_e32 v1, vcc_lo, v1, v5, vcc_lo
	global_load_b32 v4, v[0:1], off
	s_clause 0x1
	s_load_b256 s[4:11], s[0:1], 0x70
	s_load_b64 s[0:1], s[0:1], 0x48
	v_ashrrev_i32_e32 v0, 31, v3
	s_waitcnt lgkmcnt(0)
	v_mul_lo_u32 v5, s9, v3
	s_delay_alu instid0(VALU_DEP_2)
	v_mul_lo_u32 v7, s8, v0
	v_mad_u64_u32 v[0:1], null, s8, v3, 0
	s_mul_i32 s2, s4, s12
	s_mul_hi_u32 s3, s4, s15
	v_mul_lo_u32 v8, s11, v6
	s_add_i32 s2, s3, s2
	s_mul_i32 s3, s5, s15
	v_mul_lo_u32 v9, s10, v2
	s_add_i32 s3, s2, s3
	s_mul_i32 s2, s4, s15
	v_mad_u64_u32 v[2:3], null, s10, v6, 0
	s_lshl_b64 s[2:3], s[2:3], 2
	v_add3_u32 v1, v1, v7, v5
	s_add_u32 s2, s0, s2
	s_mul_i32 s0, s6, s13
	s_mul_hi_u32 s4, s6, s14
	s_addc_u32 s3, s1, s3
	s_add_i32 s0, s4, s0
	s_mul_i32 s1, s7, s14
	v_add3_u32 v3, v3, v9, v8
	s_add_i32 s1, s0, s1
	s_mul_i32 s0, s6, s14
	v_lshlrev_b64 v[0:1], 2, v[0:1]
	s_lshl_b64 s[0:1], s[0:1], 2
	v_lshlrev_b64 v[2:3], 2, v[2:3]
	s_add_u32 s0, s2, s0
	s_addc_u32 s1, s3, s1
	s_delay_alu instid0(VALU_DEP_2) | instskip(SKIP_1) | instid1(VALU_DEP_2)
	v_add_co_u32 v0, vcc_lo, s0, v0
	v_add_co_ci_u32_e32 v1, vcc_lo, s1, v1, vcc_lo
	v_add_co_u32 v0, vcc_lo, v0, v2
	s_delay_alu instid0(VALU_DEP_2)
	v_add_co_ci_u32_e32 v1, vcc_lo, v1, v3, vcc_lo
	s_waitcnt vmcnt(0)
	global_store_b32 v[0:1], v4, off
.LBB35_6:
	s_nop 0
	s_sendmsg sendmsg(MSG_DEALLOC_VGPRS)
	s_endpgm
	.section	.rodata,"a",@progbits
	.p2align	6, 0x0
	.amdhsa_kernel _ZN2at6native12_GLOBAL__N_132replication_pad_forward_kernel2dIfEEvN5torch10headeronly6detail27GenericPackedTensorAccessorINS5_14TensorAccessorIN3c108ArrayRefIlEEKT_Lm3ENS4_16DefaultPtrTraitsElEENS_6detail16IndexBoundsCheckILm4ElEESC_Lm4ESD_lEENS6_INS7_ISA_SB_Lm3ESD_lEESH_SB_Lm4ESD_lEEiiii
		.amdhsa_group_segment_fixed_size 0
		.amdhsa_private_segment_fixed_size 0
		.amdhsa_kernarg_size 416
		.amdhsa_user_sgpr_count 13
		.amdhsa_user_sgpr_dispatch_ptr 0
		.amdhsa_user_sgpr_queue_ptr 0
		.amdhsa_user_sgpr_kernarg_segment_ptr 1
		.amdhsa_user_sgpr_dispatch_id 0
		.amdhsa_user_sgpr_private_segment_size 0
		.amdhsa_wavefront_size32 1
		.amdhsa_uses_dynamic_stack 0
		.amdhsa_enable_private_segment 0
		.amdhsa_system_sgpr_workgroup_id_x 1
		.amdhsa_system_sgpr_workgroup_id_y 1
		.amdhsa_system_sgpr_workgroup_id_z 1
		.amdhsa_system_sgpr_workgroup_info 0
		.amdhsa_system_vgpr_workitem_id 0
		.amdhsa_next_free_vgpr 14
		.amdhsa_next_free_sgpr 24
		.amdhsa_reserve_vcc 1
		.amdhsa_float_round_mode_32 0
		.amdhsa_float_round_mode_16_64 0
		.amdhsa_float_denorm_mode_32 3
		.amdhsa_float_denorm_mode_16_64 3
		.amdhsa_dx10_clamp 1
		.amdhsa_ieee_mode 1
		.amdhsa_fp16_overflow 0
		.amdhsa_workgroup_processor_mode 1
		.amdhsa_memory_ordered 1
		.amdhsa_forward_progress 0
		.amdhsa_shared_vgpr_count 0
		.amdhsa_exception_fp_ieee_invalid_op 0
		.amdhsa_exception_fp_denorm_src 0
		.amdhsa_exception_fp_ieee_div_zero 0
		.amdhsa_exception_fp_ieee_overflow 0
		.amdhsa_exception_fp_ieee_underflow 0
		.amdhsa_exception_fp_ieee_inexact 0
		.amdhsa_exception_int_div_zero 0
	.end_amdhsa_kernel
	.section	.text._ZN2at6native12_GLOBAL__N_132replication_pad_forward_kernel2dIfEEvN5torch10headeronly6detail27GenericPackedTensorAccessorINS5_14TensorAccessorIN3c108ArrayRefIlEEKT_Lm3ENS4_16DefaultPtrTraitsElEENS_6detail16IndexBoundsCheckILm4ElEESC_Lm4ESD_lEENS6_INS7_ISA_SB_Lm3ESD_lEESH_SB_Lm4ESD_lEEiiii,"axG",@progbits,_ZN2at6native12_GLOBAL__N_132replication_pad_forward_kernel2dIfEEvN5torch10headeronly6detail27GenericPackedTensorAccessorINS5_14TensorAccessorIN3c108ArrayRefIlEEKT_Lm3ENS4_16DefaultPtrTraitsElEENS_6detail16IndexBoundsCheckILm4ElEESC_Lm4ESD_lEENS6_INS7_ISA_SB_Lm3ESD_lEESH_SB_Lm4ESD_lEEiiii,comdat
.Lfunc_end35:
	.size	_ZN2at6native12_GLOBAL__N_132replication_pad_forward_kernel2dIfEEvN5torch10headeronly6detail27GenericPackedTensorAccessorINS5_14TensorAccessorIN3c108ArrayRefIlEEKT_Lm3ENS4_16DefaultPtrTraitsElEENS_6detail16IndexBoundsCheckILm4ElEESC_Lm4ESD_lEENS6_INS7_ISA_SB_Lm3ESD_lEESH_SB_Lm4ESD_lEEiiii, .Lfunc_end35-_ZN2at6native12_GLOBAL__N_132replication_pad_forward_kernel2dIfEEvN5torch10headeronly6detail27GenericPackedTensorAccessorINS5_14TensorAccessorIN3c108ArrayRefIlEEKT_Lm3ENS4_16DefaultPtrTraitsElEENS_6detail16IndexBoundsCheckILm4ElEESC_Lm4ESD_lEENS6_INS7_ISA_SB_Lm3ESD_lEESH_SB_Lm4ESD_lEEiiii
                                        ; -- End function
	.section	.AMDGPU.csdata,"",@progbits
; Kernel info:
; codeLenInByte = 1720
; NumSgprs: 26
; NumVgprs: 14
; ScratchSize: 0
; MemoryBound: 0
; FloatMode: 240
; IeeeMode: 1
; LDSByteSize: 0 bytes/workgroup (compile time only)
; SGPRBlocks: 3
; VGPRBlocks: 1
; NumSGPRsForWavesPerEU: 26
; NumVGPRsForWavesPerEU: 14
; Occupancy: 16
; WaveLimiterHint : 1
; COMPUTE_PGM_RSRC2:SCRATCH_EN: 0
; COMPUTE_PGM_RSRC2:USER_SGPR: 13
; COMPUTE_PGM_RSRC2:TRAP_HANDLER: 0
; COMPUTE_PGM_RSRC2:TGID_X_EN: 1
; COMPUTE_PGM_RSRC2:TGID_Y_EN: 1
; COMPUTE_PGM_RSRC2:TGID_Z_EN: 1
; COMPUTE_PGM_RSRC2:TIDIG_COMP_CNT: 0
	.section	.text._ZN2at6native12_GLOBAL__N_132replication_pad_forward_kernel2dIN3c107complexIdEEEEvN5torch10headeronly6detail27GenericPackedTensorAccessorINS8_14TensorAccessorINS3_8ArrayRefIlEEKT_Lm3ENS7_16DefaultPtrTraitsElEENS_6detail16IndexBoundsCheckILm4ElEESE_Lm4ESF_lEENS9_INSA_ISC_SD_Lm3ESF_lEESJ_SD_Lm4ESF_lEEiiii,"axG",@progbits,_ZN2at6native12_GLOBAL__N_132replication_pad_forward_kernel2dIN3c107complexIdEEEEvN5torch10headeronly6detail27GenericPackedTensorAccessorINS8_14TensorAccessorINS3_8ArrayRefIlEEKT_Lm3ENS7_16DefaultPtrTraitsElEENS_6detail16IndexBoundsCheckILm4ElEESE_Lm4ESF_lEENS9_INSA_ISC_SD_Lm3ESF_lEESJ_SD_Lm4ESF_lEEiiii,comdat
	.globl	_ZN2at6native12_GLOBAL__N_132replication_pad_forward_kernel2dIN3c107complexIdEEEEvN5torch10headeronly6detail27GenericPackedTensorAccessorINS8_14TensorAccessorINS3_8ArrayRefIlEEKT_Lm3ENS7_16DefaultPtrTraitsElEENS_6detail16IndexBoundsCheckILm4ElEESE_Lm4ESF_lEENS9_INSA_ISC_SD_Lm3ESF_lEESJ_SD_Lm4ESF_lEEiiii ; -- Begin function _ZN2at6native12_GLOBAL__N_132replication_pad_forward_kernel2dIN3c107complexIdEEEEvN5torch10headeronly6detail27GenericPackedTensorAccessorINS8_14TensorAccessorINS3_8ArrayRefIlEEKT_Lm3ENS7_16DefaultPtrTraitsElEENS_6detail16IndexBoundsCheckILm4ElEESE_Lm4ESF_lEENS9_INSA_ISC_SD_Lm3ESF_lEESJ_SD_Lm4ESF_lEEiiii
	.p2align	8
	.type	_ZN2at6native12_GLOBAL__N_132replication_pad_forward_kernel2dIN3c107complexIdEEEEvN5torch10headeronly6detail27GenericPackedTensorAccessorINS8_14TensorAccessorINS3_8ArrayRefIlEEKT_Lm3ENS7_16DefaultPtrTraitsElEENS_6detail16IndexBoundsCheckILm4ElEESE_Lm4ESF_lEENS9_INSA_ISC_SD_Lm3ESF_lEESJ_SD_Lm4ESF_lEEiiii,@function
_ZN2at6native12_GLOBAL__N_132replication_pad_forward_kernel2dIN3c107complexIdEEEEvN5torch10headeronly6detail27GenericPackedTensorAccessorINS8_14TensorAccessorINS3_8ArrayRefIlEEKT_Lm3ENS7_16DefaultPtrTraitsElEENS_6detail16IndexBoundsCheckILm4ElEESE_Lm4ESF_lEENS9_INSA_ISC_SD_Lm3ESF_lEESJ_SD_Lm4ESF_lEEiiii: ; @_ZN2at6native12_GLOBAL__N_132replication_pad_forward_kernel2dIN3c107complexIdEEEEvN5torch10headeronly6detail27GenericPackedTensorAccessorINS8_14TensorAccessorINS3_8ArrayRefIlEEKT_Lm3ENS7_16DefaultPtrTraitsElEENS_6detail16IndexBoundsCheckILm4ElEESE_Lm4ESF_lEENS9_INSA_ISC_SD_Lm3ESF_lEESJ_SD_Lm4ESF_lEEiiii
; %bb.0:
	s_clause 0x1
	s_load_b32 s2, s[0:1], 0xac
	s_load_b128 s[4:7], s[0:1], 0x60
	s_waitcnt lgkmcnt(0)
	s_and_b32 s2, s2, 0xffff
	s_mul_hi_u32 s3, s6, s4
	v_mad_u64_u32 v[1:2], null, s13, s2, v[0:1]
	s_mul_i32 s2, s6, s5
	s_delay_alu instid0(SALU_CYCLE_1) | instskip(SKIP_1) | instid1(SALU_CYCLE_1)
	s_add_i32 s2, s3, s2
	s_mul_i32 s3, s7, s4
	s_add_i32 s3, s2, s3
	s_delay_alu instid0(VALU_DEP_1)
	v_ashrrev_i32_e32 v2, 31, v1
	s_mul_i32 s2, s6, s4
	s_delay_alu instid0(VALU_DEP_1) | instid1(SALU_CYCLE_1)
	v_cmp_gt_i64_e32 vcc_lo, s[2:3], v[1:2]
	s_and_saveexec_b32 s2, vcc_lo
	s_cbranch_execz .LBB36_6
; %bb.1:
	v_or_b32_e32 v4, s7, v2
	v_mov_b32_e32 v3, 0
	s_delay_alu instid0(VALU_DEP_1) | instskip(SKIP_1) | instid1(SALU_CYCLE_1)
	v_cmp_ne_u64_e32 vcc_lo, 0, v[3:4]
                                        ; implicit-def: $vgpr3_vgpr4
	s_and_saveexec_b32 s2, vcc_lo
	s_xor_b32 s3, exec_lo, s2
	s_cbranch_execz .LBB36_3
; %bb.2:
	s_ashr_i32 s4, s7, 31
	s_delay_alu instid0(SALU_CYCLE_1) | instskip(SKIP_2) | instid1(SALU_CYCLE_1)
	s_add_u32 s8, s6, s4
	s_mov_b32 s5, s4
	s_addc_u32 s9, s7, s4
	s_xor_b64 s[8:9], s[8:9], s[4:5]
	s_delay_alu instid0(SALU_CYCLE_1) | instskip(SKIP_3) | instid1(VALU_DEP_1)
	v_cvt_f32_u32_e32 v0, s8
	v_cvt_f32_u32_e32 v3, s9
	s_sub_u32 s2, 0, s8
	s_subb_u32 s5, 0, s9
	v_fmamk_f32 v0, v3, 0x4f800000, v0
	s_delay_alu instid0(VALU_DEP_1) | instskip(SKIP_2) | instid1(VALU_DEP_1)
	v_rcp_f32_e32 v0, v0
	s_waitcnt_depctr 0xfff
	v_mul_f32_e32 v0, 0x5f7ffffc, v0
	v_mul_f32_e32 v3, 0x2f800000, v0
	s_delay_alu instid0(VALU_DEP_1) | instskip(NEXT) | instid1(VALU_DEP_1)
	v_trunc_f32_e32 v3, v3
	v_fmamk_f32 v0, v3, 0xcf800000, v0
	v_cvt_u32_f32_e32 v3, v3
	s_delay_alu instid0(VALU_DEP_2) | instskip(NEXT) | instid1(VALU_DEP_2)
	v_cvt_u32_f32_e32 v0, v0
	v_mul_lo_u32 v4, s2, v3
	s_delay_alu instid0(VALU_DEP_2) | instskip(SKIP_1) | instid1(VALU_DEP_2)
	v_mul_hi_u32 v5, s2, v0
	v_mul_lo_u32 v6, s5, v0
	v_add_nc_u32_e32 v4, v5, v4
	v_mul_lo_u32 v5, s2, v0
	s_delay_alu instid0(VALU_DEP_2) | instskip(NEXT) | instid1(VALU_DEP_2)
	v_add_nc_u32_e32 v4, v4, v6
	v_mul_hi_u32 v6, v0, v5
	s_delay_alu instid0(VALU_DEP_2)
	v_mul_lo_u32 v7, v0, v4
	v_mul_hi_u32 v8, v0, v4
	v_mul_hi_u32 v9, v3, v5
	v_mul_lo_u32 v5, v3, v5
	v_mul_hi_u32 v10, v3, v4
	v_mul_lo_u32 v4, v3, v4
	v_add_co_u32 v6, vcc_lo, v6, v7
	v_add_co_ci_u32_e32 v7, vcc_lo, 0, v8, vcc_lo
	s_delay_alu instid0(VALU_DEP_2) | instskip(NEXT) | instid1(VALU_DEP_2)
	v_add_co_u32 v5, vcc_lo, v6, v5
	v_add_co_ci_u32_e32 v5, vcc_lo, v7, v9, vcc_lo
	v_add_co_ci_u32_e32 v6, vcc_lo, 0, v10, vcc_lo
	v_ashrrev_i32_e32 v9, 31, v2
	s_delay_alu instid0(VALU_DEP_3) | instskip(NEXT) | instid1(VALU_DEP_3)
	v_add_co_u32 v4, vcc_lo, v5, v4
	v_add_co_ci_u32_e32 v5, vcc_lo, 0, v6, vcc_lo
	s_delay_alu instid0(VALU_DEP_2) | instskip(NEXT) | instid1(VALU_DEP_2)
	v_add_co_u32 v0, vcc_lo, v0, v4
	v_add_co_ci_u32_e32 v3, vcc_lo, v3, v5, vcc_lo
	s_delay_alu instid0(VALU_DEP_2) | instskip(SKIP_1) | instid1(VALU_DEP_3)
	v_mul_hi_u32 v4, s2, v0
	v_mul_lo_u32 v6, s5, v0
	v_mul_lo_u32 v5, s2, v3
	s_delay_alu instid0(VALU_DEP_1) | instskip(SKIP_1) | instid1(VALU_DEP_2)
	v_add_nc_u32_e32 v4, v4, v5
	v_mul_lo_u32 v5, s2, v0
	v_add_nc_u32_e32 v4, v4, v6
	s_delay_alu instid0(VALU_DEP_2) | instskip(NEXT) | instid1(VALU_DEP_2)
	v_mul_hi_u32 v6, v0, v5
	v_mul_lo_u32 v7, v0, v4
	v_mul_hi_u32 v8, v0, v4
	v_mul_hi_u32 v10, v3, v5
	v_mul_lo_u32 v5, v3, v5
	v_mul_hi_u32 v11, v3, v4
	v_mul_lo_u32 v4, v3, v4
	v_add_co_u32 v6, vcc_lo, v6, v7
	v_add_co_ci_u32_e32 v7, vcc_lo, 0, v8, vcc_lo
	s_delay_alu instid0(VALU_DEP_2) | instskip(NEXT) | instid1(VALU_DEP_2)
	v_add_co_u32 v5, vcc_lo, v6, v5
	v_add_co_ci_u32_e32 v5, vcc_lo, v7, v10, vcc_lo
	v_add_co_ci_u32_e32 v6, vcc_lo, 0, v11, vcc_lo
	v_add_co_u32 v7, vcc_lo, v1, v9
	v_add_co_ci_u32_e32 v8, vcc_lo, v2, v9, vcc_lo
	s_delay_alu instid0(VALU_DEP_4) | instskip(NEXT) | instid1(VALU_DEP_4)
	v_add_co_u32 v4, vcc_lo, v5, v4
	v_add_co_ci_u32_e32 v5, vcc_lo, 0, v6, vcc_lo
	s_delay_alu instid0(VALU_DEP_4) | instskip(NEXT) | instid1(VALU_DEP_3)
	v_xor_b32_e32 v10, v7, v9
	v_add_co_u32 v0, vcc_lo, v0, v4
	s_delay_alu instid0(VALU_DEP_3) | instskip(SKIP_1) | instid1(VALU_DEP_3)
	v_add_co_ci_u32_e32 v11, vcc_lo, v3, v5, vcc_lo
	v_xor_b32_e32 v12, v8, v9
	v_mul_hi_u32 v13, v10, v0
	s_delay_alu instid0(VALU_DEP_3) | instskip(NEXT) | instid1(VALU_DEP_3)
	v_mad_u64_u32 v[3:4], null, v10, v11, 0
	v_mad_u64_u32 v[5:6], null, v12, v0, 0
	;; [unrolled: 1-line block ×3, first 2 shown]
	s_delay_alu instid0(VALU_DEP_3) | instskip(NEXT) | instid1(VALU_DEP_4)
	v_add_co_u32 v0, vcc_lo, v13, v3
	v_add_co_ci_u32_e32 v3, vcc_lo, 0, v4, vcc_lo
	s_delay_alu instid0(VALU_DEP_2) | instskip(NEXT) | instid1(VALU_DEP_2)
	v_add_co_u32 v0, vcc_lo, v0, v5
	v_add_co_ci_u32_e32 v0, vcc_lo, v3, v6, vcc_lo
	v_add_co_ci_u32_e32 v3, vcc_lo, 0, v8, vcc_lo
	s_delay_alu instid0(VALU_DEP_2) | instskip(NEXT) | instid1(VALU_DEP_2)
	v_add_co_u32 v0, vcc_lo, v0, v7
	v_add_co_ci_u32_e32 v5, vcc_lo, 0, v3, vcc_lo
	s_delay_alu instid0(VALU_DEP_2) | instskip(SKIP_1) | instid1(VALU_DEP_3)
	v_mul_lo_u32 v6, s9, v0
	v_mad_u64_u32 v[3:4], null, s8, v0, 0
	v_mul_lo_u32 v7, s8, v5
	s_delay_alu instid0(VALU_DEP_2) | instskip(NEXT) | instid1(VALU_DEP_2)
	v_sub_co_u32 v3, vcc_lo, v10, v3
	v_add3_u32 v4, v4, v7, v6
	s_delay_alu instid0(VALU_DEP_1) | instskip(NEXT) | instid1(VALU_DEP_1)
	v_sub_nc_u32_e32 v6, v12, v4
	v_subrev_co_ci_u32_e64 v6, s2, s9, v6, vcc_lo
	v_add_co_u32 v7, s2, v0, 2
	s_delay_alu instid0(VALU_DEP_1) | instskip(SKIP_3) | instid1(VALU_DEP_3)
	v_add_co_ci_u32_e64 v8, s2, 0, v5, s2
	v_sub_co_u32 v10, s2, v3, s8
	v_sub_co_ci_u32_e32 v4, vcc_lo, v12, v4, vcc_lo
	v_subrev_co_ci_u32_e64 v6, s2, 0, v6, s2
	v_cmp_le_u32_e32 vcc_lo, s8, v10
	s_delay_alu instid0(VALU_DEP_3) | instskip(SKIP_1) | instid1(VALU_DEP_4)
	v_cmp_eq_u32_e64 s2, s9, v4
	v_cndmask_b32_e64 v10, 0, -1, vcc_lo
	v_cmp_le_u32_e32 vcc_lo, s9, v6
	v_cndmask_b32_e64 v11, 0, -1, vcc_lo
	v_cmp_le_u32_e32 vcc_lo, s8, v3
	;; [unrolled: 2-line block ×3, first 2 shown]
	v_cndmask_b32_e64 v12, 0, -1, vcc_lo
	v_cmp_eq_u32_e32 vcc_lo, s9, v6
	s_delay_alu instid0(VALU_DEP_2) | instskip(SKIP_3) | instid1(VALU_DEP_3)
	v_cndmask_b32_e64 v3, v12, v3, s2
	v_cndmask_b32_e32 v6, v11, v10, vcc_lo
	v_add_co_u32 v10, vcc_lo, v0, 1
	v_add_co_ci_u32_e32 v11, vcc_lo, 0, v5, vcc_lo
	v_cmp_ne_u32_e32 vcc_lo, 0, v6
	s_delay_alu instid0(VALU_DEP_2) | instskip(NEXT) | instid1(VALU_DEP_4)
	v_cndmask_b32_e32 v4, v11, v8, vcc_lo
	v_cndmask_b32_e32 v6, v10, v7, vcc_lo
	v_cmp_ne_u32_e32 vcc_lo, 0, v3
	v_xor_b32_e32 v7, s4, v9
	s_delay_alu instid0(VALU_DEP_3) | instskip(NEXT) | instid1(VALU_DEP_1)
	v_dual_cndmask_b32 v0, v0, v6 :: v_dual_cndmask_b32 v3, v5, v4
	v_xor_b32_e32 v0, v0, v7
	s_delay_alu instid0(VALU_DEP_2) | instskip(NEXT) | instid1(VALU_DEP_2)
	v_xor_b32_e32 v4, v3, v7
	v_sub_co_u32 v3, vcc_lo, v0, v7
	s_delay_alu instid0(VALU_DEP_2)
	v_sub_co_ci_u32_e32 v4, vcc_lo, v4, v7, vcc_lo
.LBB36_3:
	s_and_not1_saveexec_b32 s2, s3
	s_cbranch_execz .LBB36_5
; %bb.4:
	v_cvt_f32_u32_e32 v0, s6
	s_sub_i32 s3, 0, s6
	s_delay_alu instid0(VALU_DEP_1) | instskip(SKIP_2) | instid1(VALU_DEP_1)
	v_rcp_iflag_f32_e32 v0, v0
	s_waitcnt_depctr 0xfff
	v_mul_f32_e32 v0, 0x4f7ffffe, v0
	v_cvt_u32_f32_e32 v0, v0
	s_delay_alu instid0(VALU_DEP_1) | instskip(NEXT) | instid1(VALU_DEP_1)
	v_mul_lo_u32 v3, s3, v0
	v_mul_hi_u32 v3, v0, v3
	s_delay_alu instid0(VALU_DEP_1) | instskip(NEXT) | instid1(VALU_DEP_1)
	v_add_nc_u32_e32 v0, v0, v3
	v_mul_hi_u32 v0, v1, v0
	s_delay_alu instid0(VALU_DEP_1) | instskip(SKIP_1) | instid1(VALU_DEP_2)
	v_mul_lo_u32 v3, v0, s6
	v_add_nc_u32_e32 v4, 1, v0
	v_sub_nc_u32_e32 v3, v1, v3
	s_delay_alu instid0(VALU_DEP_1) | instskip(SKIP_1) | instid1(VALU_DEP_2)
	v_subrev_nc_u32_e32 v5, s6, v3
	v_cmp_le_u32_e32 vcc_lo, s6, v3
	v_dual_cndmask_b32 v3, v3, v5 :: v_dual_cndmask_b32 v0, v0, v4
	s_delay_alu instid0(VALU_DEP_1) | instskip(NEXT) | instid1(VALU_DEP_2)
	v_cmp_le_u32_e32 vcc_lo, s6, v3
	v_add_nc_u32_e32 v4, 1, v0
	s_delay_alu instid0(VALU_DEP_1)
	v_dual_cndmask_b32 v3, v0, v4 :: v_dual_mov_b32 v4, 0
.LBB36_5:
	s_or_b32 exec_lo, exec_lo, s2
	s_clause 0x1
	s_load_b128 s[20:23], s[0:1], 0x90
	s_load_b128 s[16:19], s[0:1], 0x38
	v_mul_lo_u32 v0, v4, s6
	v_mul_lo_u32 v6, v3, s7
	v_mad_u64_u32 v[4:5], null, v3, s6, 0
	s_clause 0x1
	s_load_b256 s[4:11], s[0:1], 0x18
	s_load_b64 s[2:3], s[0:1], 0x0
	s_delay_alu instid0(VALU_DEP_1) | instskip(NEXT) | instid1(VALU_DEP_2)
	v_add3_u32 v0, v5, v6, v0
	v_sub_co_u32 v8, vcc_lo, v1, v4
	s_delay_alu instid0(VALU_DEP_2)
	v_sub_co_ci_u32_e32 v2, vcc_lo, v2, v0, vcc_lo
	s_waitcnt lgkmcnt(0)
	s_sub_i32 s7, 0, s20
	s_max_i32 s13, s20, 0
	s_max_i32 s7, s7, 0
	s_sub_i32 s5, 0, s21
	s_sub_i32 s7, s7, s13
	s_add_i32 s4, s20, s4
	s_add_i32 s6, s21, s6
	s_add_i32 s4, s4, -1
	s_add_i32 s6, s6, -1
	v_maxmin_i32 v1, s20, v3, s4
	v_maxmin_i32 v0, s21, v8, s6
	s_max_i32 s12, s21, 0
	s_max_i32 s5, s5, 0
	s_add_i32 s15, s15, s23
	v_add_nc_u32_e32 v4, s7, v1
	s_sub_i32 s6, s5, s12
	s_ashr_i32 s12, s15, 31
	v_add_nc_u32_e32 v6, s6, v0
	s_mul_i32 s5, s8, s12
	v_ashrrev_i32_e32 v0, 31, v4
	s_mul_hi_u32 s21, s8, s15
	s_mul_i32 s9, s9, s15
	s_add_i32 s5, s21, s5
	v_ashrrev_i32_e32 v5, 31, v6
	v_mul_lo_u32 v7, s16, v0
	v_mul_lo_u32 v9, s17, v4
	v_mad_u64_u32 v[0:1], null, s16, v4, 0
	s_add_i32 s5, s5, s9
	s_mul_i32 s4, s8, s15
	s_add_i32 s14, s14, s22
	s_lshl_b64 s[4:5], s[4:5], 4
	v_mul_lo_u32 v10, s18, v5
	v_mul_lo_u32 v11, s19, v6
	v_mad_u64_u32 v[4:5], null, s18, v6, 0
	s_add_u32 s4, s2, s4
	s_addc_u32 s5, s3, s5
	s_ashr_i32 s13, s14, 31
	v_add3_u32 v1, v1, v7, v9
	s_mul_i32 s2, s10, s13
	s_mul_hi_u32 s3, s10, s14
	s_delay_alu instid0(VALU_DEP_2)
	v_add3_u32 v5, v5, v10, v11
	s_add_i32 s2, s3, s2
	s_mul_i32 s3, s11, s14
	v_lshlrev_b64 v[0:1], 4, v[0:1]
	s_add_i32 s3, s2, s3
	s_mul_i32 s2, s10, s14
	v_lshlrev_b64 v[4:5], 4, v[4:5]
	s_lshl_b64 s[2:3], s[2:3], 4
	s_delay_alu instid0(SALU_CYCLE_1) | instskip(SKIP_3) | instid1(VALU_DEP_2)
	s_add_u32 s2, s4, s2
	s_addc_u32 s3, s5, s3
	v_add_co_u32 v0, vcc_lo, s2, v0
	v_add_co_ci_u32_e32 v1, vcc_lo, s3, v1, vcc_lo
	v_add_co_u32 v0, vcc_lo, v0, v4
	s_delay_alu instid0(VALU_DEP_2)
	v_add_co_ci_u32_e32 v1, vcc_lo, v1, v5, vcc_lo
	global_load_b128 v[4:7], v[0:1], off
	s_clause 0x1
	s_load_b256 s[4:11], s[0:1], 0x70
	s_load_b64 s[0:1], s[0:1], 0x48
	v_ashrrev_i32_e32 v0, 31, v3
	s_waitcnt lgkmcnt(0)
	v_mul_lo_u32 v9, s9, v3
	s_delay_alu instid0(VALU_DEP_2)
	v_mul_lo_u32 v10, s8, v0
	v_mad_u64_u32 v[0:1], null, s8, v3, 0
	s_mul_i32 s2, s4, s12
	s_mul_hi_u32 s3, s4, s15
	v_mul_lo_u32 v11, s11, v8
	s_add_i32 s2, s3, s2
	s_mul_i32 s3, s5, s15
	v_mul_lo_u32 v12, s10, v2
	s_add_i32 s3, s2, s3
	s_mul_i32 s2, s4, s15
	v_mad_u64_u32 v[2:3], null, s10, v8, 0
	s_lshl_b64 s[2:3], s[2:3], 4
	v_add3_u32 v1, v1, v10, v9
	s_add_u32 s2, s0, s2
	s_mul_i32 s0, s6, s13
	s_mul_hi_u32 s4, s6, s14
	s_addc_u32 s3, s1, s3
	s_add_i32 s0, s4, s0
	s_mul_i32 s1, s7, s14
	v_add3_u32 v3, v3, v12, v11
	s_add_i32 s1, s0, s1
	s_mul_i32 s0, s6, s14
	v_lshlrev_b64 v[0:1], 4, v[0:1]
	s_lshl_b64 s[0:1], s[0:1], 4
	v_lshlrev_b64 v[2:3], 4, v[2:3]
	s_add_u32 s0, s2, s0
	s_addc_u32 s1, s3, s1
	s_delay_alu instid0(VALU_DEP_2) | instskip(SKIP_1) | instid1(VALU_DEP_2)
	v_add_co_u32 v0, vcc_lo, s0, v0
	v_add_co_ci_u32_e32 v1, vcc_lo, s1, v1, vcc_lo
	v_add_co_u32 v0, vcc_lo, v0, v2
	s_delay_alu instid0(VALU_DEP_2)
	v_add_co_ci_u32_e32 v1, vcc_lo, v1, v3, vcc_lo
	s_waitcnt vmcnt(0)
	global_store_b128 v[0:1], v[4:7], off
.LBB36_6:
	s_nop 0
	s_sendmsg sendmsg(MSG_DEALLOC_VGPRS)
	s_endpgm
	.section	.rodata,"a",@progbits
	.p2align	6, 0x0
	.amdhsa_kernel _ZN2at6native12_GLOBAL__N_132replication_pad_forward_kernel2dIN3c107complexIdEEEEvN5torch10headeronly6detail27GenericPackedTensorAccessorINS8_14TensorAccessorINS3_8ArrayRefIlEEKT_Lm3ENS7_16DefaultPtrTraitsElEENS_6detail16IndexBoundsCheckILm4ElEESE_Lm4ESF_lEENS9_INSA_ISC_SD_Lm3ESF_lEESJ_SD_Lm4ESF_lEEiiii
		.amdhsa_group_segment_fixed_size 0
		.amdhsa_private_segment_fixed_size 0
		.amdhsa_kernarg_size 416
		.amdhsa_user_sgpr_count 13
		.amdhsa_user_sgpr_dispatch_ptr 0
		.amdhsa_user_sgpr_queue_ptr 0
		.amdhsa_user_sgpr_kernarg_segment_ptr 1
		.amdhsa_user_sgpr_dispatch_id 0
		.amdhsa_user_sgpr_private_segment_size 0
		.amdhsa_wavefront_size32 1
		.amdhsa_uses_dynamic_stack 0
		.amdhsa_enable_private_segment 0
		.amdhsa_system_sgpr_workgroup_id_x 1
		.amdhsa_system_sgpr_workgroup_id_y 1
		.amdhsa_system_sgpr_workgroup_id_z 1
		.amdhsa_system_sgpr_workgroup_info 0
		.amdhsa_system_vgpr_workitem_id 0
		.amdhsa_next_free_vgpr 14
		.amdhsa_next_free_sgpr 24
		.amdhsa_reserve_vcc 1
		.amdhsa_float_round_mode_32 0
		.amdhsa_float_round_mode_16_64 0
		.amdhsa_float_denorm_mode_32 3
		.amdhsa_float_denorm_mode_16_64 3
		.amdhsa_dx10_clamp 1
		.amdhsa_ieee_mode 1
		.amdhsa_fp16_overflow 0
		.amdhsa_workgroup_processor_mode 1
		.amdhsa_memory_ordered 1
		.amdhsa_forward_progress 0
		.amdhsa_shared_vgpr_count 0
		.amdhsa_exception_fp_ieee_invalid_op 0
		.amdhsa_exception_fp_denorm_src 0
		.amdhsa_exception_fp_ieee_div_zero 0
		.amdhsa_exception_fp_ieee_overflow 0
		.amdhsa_exception_fp_ieee_underflow 0
		.amdhsa_exception_fp_ieee_inexact 0
		.amdhsa_exception_int_div_zero 0
	.end_amdhsa_kernel
	.section	.text._ZN2at6native12_GLOBAL__N_132replication_pad_forward_kernel2dIN3c107complexIdEEEEvN5torch10headeronly6detail27GenericPackedTensorAccessorINS8_14TensorAccessorINS3_8ArrayRefIlEEKT_Lm3ENS7_16DefaultPtrTraitsElEENS_6detail16IndexBoundsCheckILm4ElEESE_Lm4ESF_lEENS9_INSA_ISC_SD_Lm3ESF_lEESJ_SD_Lm4ESF_lEEiiii,"axG",@progbits,_ZN2at6native12_GLOBAL__N_132replication_pad_forward_kernel2dIN3c107complexIdEEEEvN5torch10headeronly6detail27GenericPackedTensorAccessorINS8_14TensorAccessorINS3_8ArrayRefIlEEKT_Lm3ENS7_16DefaultPtrTraitsElEENS_6detail16IndexBoundsCheckILm4ElEESE_Lm4ESF_lEENS9_INSA_ISC_SD_Lm3ESF_lEESJ_SD_Lm4ESF_lEEiiii,comdat
.Lfunc_end36:
	.size	_ZN2at6native12_GLOBAL__N_132replication_pad_forward_kernel2dIN3c107complexIdEEEEvN5torch10headeronly6detail27GenericPackedTensorAccessorINS8_14TensorAccessorINS3_8ArrayRefIlEEKT_Lm3ENS7_16DefaultPtrTraitsElEENS_6detail16IndexBoundsCheckILm4ElEESE_Lm4ESF_lEENS9_INSA_ISC_SD_Lm3ESF_lEESJ_SD_Lm4ESF_lEEiiii, .Lfunc_end36-_ZN2at6native12_GLOBAL__N_132replication_pad_forward_kernel2dIN3c107complexIdEEEEvN5torch10headeronly6detail27GenericPackedTensorAccessorINS8_14TensorAccessorINS3_8ArrayRefIlEEKT_Lm3ENS7_16DefaultPtrTraitsElEENS_6detail16IndexBoundsCheckILm4ElEESE_Lm4ESF_lEENS9_INSA_ISC_SD_Lm3ESF_lEESJ_SD_Lm4ESF_lEEiiii
                                        ; -- End function
	.section	.AMDGPU.csdata,"",@progbits
; Kernel info:
; codeLenInByte = 1720
; NumSgprs: 26
; NumVgprs: 14
; ScratchSize: 0
; MemoryBound: 0
; FloatMode: 240
; IeeeMode: 1
; LDSByteSize: 0 bytes/workgroup (compile time only)
; SGPRBlocks: 3
; VGPRBlocks: 1
; NumSGPRsForWavesPerEU: 26
; NumVGPRsForWavesPerEU: 14
; Occupancy: 16
; WaveLimiterHint : 1
; COMPUTE_PGM_RSRC2:SCRATCH_EN: 0
; COMPUTE_PGM_RSRC2:USER_SGPR: 13
; COMPUTE_PGM_RSRC2:TRAP_HANDLER: 0
; COMPUTE_PGM_RSRC2:TGID_X_EN: 1
; COMPUTE_PGM_RSRC2:TGID_Y_EN: 1
; COMPUTE_PGM_RSRC2:TGID_Z_EN: 1
; COMPUTE_PGM_RSRC2:TIDIG_COMP_CNT: 0
	.section	.text._ZN2at6native12_GLOBAL__N_132replication_pad_forward_kernel2dIN3c107complexIfEEEEvN5torch10headeronly6detail27GenericPackedTensorAccessorINS8_14TensorAccessorINS3_8ArrayRefIlEEKT_Lm3ENS7_16DefaultPtrTraitsElEENS_6detail16IndexBoundsCheckILm4ElEESE_Lm4ESF_lEENS9_INSA_ISC_SD_Lm3ESF_lEESJ_SD_Lm4ESF_lEEiiii,"axG",@progbits,_ZN2at6native12_GLOBAL__N_132replication_pad_forward_kernel2dIN3c107complexIfEEEEvN5torch10headeronly6detail27GenericPackedTensorAccessorINS8_14TensorAccessorINS3_8ArrayRefIlEEKT_Lm3ENS7_16DefaultPtrTraitsElEENS_6detail16IndexBoundsCheckILm4ElEESE_Lm4ESF_lEENS9_INSA_ISC_SD_Lm3ESF_lEESJ_SD_Lm4ESF_lEEiiii,comdat
	.globl	_ZN2at6native12_GLOBAL__N_132replication_pad_forward_kernel2dIN3c107complexIfEEEEvN5torch10headeronly6detail27GenericPackedTensorAccessorINS8_14TensorAccessorINS3_8ArrayRefIlEEKT_Lm3ENS7_16DefaultPtrTraitsElEENS_6detail16IndexBoundsCheckILm4ElEESE_Lm4ESF_lEENS9_INSA_ISC_SD_Lm3ESF_lEESJ_SD_Lm4ESF_lEEiiii ; -- Begin function _ZN2at6native12_GLOBAL__N_132replication_pad_forward_kernel2dIN3c107complexIfEEEEvN5torch10headeronly6detail27GenericPackedTensorAccessorINS8_14TensorAccessorINS3_8ArrayRefIlEEKT_Lm3ENS7_16DefaultPtrTraitsElEENS_6detail16IndexBoundsCheckILm4ElEESE_Lm4ESF_lEENS9_INSA_ISC_SD_Lm3ESF_lEESJ_SD_Lm4ESF_lEEiiii
	.p2align	8
	.type	_ZN2at6native12_GLOBAL__N_132replication_pad_forward_kernel2dIN3c107complexIfEEEEvN5torch10headeronly6detail27GenericPackedTensorAccessorINS8_14TensorAccessorINS3_8ArrayRefIlEEKT_Lm3ENS7_16DefaultPtrTraitsElEENS_6detail16IndexBoundsCheckILm4ElEESE_Lm4ESF_lEENS9_INSA_ISC_SD_Lm3ESF_lEESJ_SD_Lm4ESF_lEEiiii,@function
_ZN2at6native12_GLOBAL__N_132replication_pad_forward_kernel2dIN3c107complexIfEEEEvN5torch10headeronly6detail27GenericPackedTensorAccessorINS8_14TensorAccessorINS3_8ArrayRefIlEEKT_Lm3ENS7_16DefaultPtrTraitsElEENS_6detail16IndexBoundsCheckILm4ElEESE_Lm4ESF_lEENS9_INSA_ISC_SD_Lm3ESF_lEESJ_SD_Lm4ESF_lEEiiii: ; @_ZN2at6native12_GLOBAL__N_132replication_pad_forward_kernel2dIN3c107complexIfEEEEvN5torch10headeronly6detail27GenericPackedTensorAccessorINS8_14TensorAccessorINS3_8ArrayRefIlEEKT_Lm3ENS7_16DefaultPtrTraitsElEENS_6detail16IndexBoundsCheckILm4ElEESE_Lm4ESF_lEENS9_INSA_ISC_SD_Lm3ESF_lEESJ_SD_Lm4ESF_lEEiiii
; %bb.0:
	s_clause 0x1
	s_load_b32 s2, s[0:1], 0xac
	s_load_b128 s[4:7], s[0:1], 0x60
	s_waitcnt lgkmcnt(0)
	s_and_b32 s2, s2, 0xffff
	s_mul_hi_u32 s3, s6, s4
	v_mad_u64_u32 v[1:2], null, s13, s2, v[0:1]
	s_mul_i32 s2, s6, s5
	s_delay_alu instid0(SALU_CYCLE_1) | instskip(SKIP_1) | instid1(SALU_CYCLE_1)
	s_add_i32 s2, s3, s2
	s_mul_i32 s3, s7, s4
	s_add_i32 s3, s2, s3
	s_delay_alu instid0(VALU_DEP_1)
	v_ashrrev_i32_e32 v2, 31, v1
	s_mul_i32 s2, s6, s4
	s_delay_alu instid0(VALU_DEP_1) | instid1(SALU_CYCLE_1)
	v_cmp_gt_i64_e32 vcc_lo, s[2:3], v[1:2]
	s_and_saveexec_b32 s2, vcc_lo
	s_cbranch_execz .LBB37_6
; %bb.1:
	v_or_b32_e32 v4, s7, v2
	v_mov_b32_e32 v3, 0
	s_delay_alu instid0(VALU_DEP_1) | instskip(SKIP_1) | instid1(SALU_CYCLE_1)
	v_cmp_ne_u64_e32 vcc_lo, 0, v[3:4]
                                        ; implicit-def: $vgpr3_vgpr4
	s_and_saveexec_b32 s2, vcc_lo
	s_xor_b32 s3, exec_lo, s2
	s_cbranch_execz .LBB37_3
; %bb.2:
	s_ashr_i32 s4, s7, 31
	s_delay_alu instid0(SALU_CYCLE_1) | instskip(SKIP_2) | instid1(SALU_CYCLE_1)
	s_add_u32 s8, s6, s4
	s_mov_b32 s5, s4
	s_addc_u32 s9, s7, s4
	s_xor_b64 s[8:9], s[8:9], s[4:5]
	s_delay_alu instid0(SALU_CYCLE_1) | instskip(SKIP_3) | instid1(VALU_DEP_1)
	v_cvt_f32_u32_e32 v0, s8
	v_cvt_f32_u32_e32 v3, s9
	s_sub_u32 s2, 0, s8
	s_subb_u32 s5, 0, s9
	v_fmamk_f32 v0, v3, 0x4f800000, v0
	s_delay_alu instid0(VALU_DEP_1) | instskip(SKIP_2) | instid1(VALU_DEP_1)
	v_rcp_f32_e32 v0, v0
	s_waitcnt_depctr 0xfff
	v_mul_f32_e32 v0, 0x5f7ffffc, v0
	v_mul_f32_e32 v3, 0x2f800000, v0
	s_delay_alu instid0(VALU_DEP_1) | instskip(NEXT) | instid1(VALU_DEP_1)
	v_trunc_f32_e32 v3, v3
	v_fmamk_f32 v0, v3, 0xcf800000, v0
	v_cvt_u32_f32_e32 v3, v3
	s_delay_alu instid0(VALU_DEP_2) | instskip(NEXT) | instid1(VALU_DEP_2)
	v_cvt_u32_f32_e32 v0, v0
	v_mul_lo_u32 v4, s2, v3
	s_delay_alu instid0(VALU_DEP_2) | instskip(SKIP_1) | instid1(VALU_DEP_2)
	v_mul_hi_u32 v5, s2, v0
	v_mul_lo_u32 v6, s5, v0
	v_add_nc_u32_e32 v4, v5, v4
	v_mul_lo_u32 v5, s2, v0
	s_delay_alu instid0(VALU_DEP_2) | instskip(NEXT) | instid1(VALU_DEP_2)
	v_add_nc_u32_e32 v4, v4, v6
	v_mul_hi_u32 v6, v0, v5
	s_delay_alu instid0(VALU_DEP_2)
	v_mul_lo_u32 v7, v0, v4
	v_mul_hi_u32 v8, v0, v4
	v_mul_hi_u32 v9, v3, v5
	v_mul_lo_u32 v5, v3, v5
	v_mul_hi_u32 v10, v3, v4
	v_mul_lo_u32 v4, v3, v4
	v_add_co_u32 v6, vcc_lo, v6, v7
	v_add_co_ci_u32_e32 v7, vcc_lo, 0, v8, vcc_lo
	s_delay_alu instid0(VALU_DEP_2) | instskip(NEXT) | instid1(VALU_DEP_2)
	v_add_co_u32 v5, vcc_lo, v6, v5
	v_add_co_ci_u32_e32 v5, vcc_lo, v7, v9, vcc_lo
	v_add_co_ci_u32_e32 v6, vcc_lo, 0, v10, vcc_lo
	v_ashrrev_i32_e32 v9, 31, v2
	s_delay_alu instid0(VALU_DEP_3) | instskip(NEXT) | instid1(VALU_DEP_3)
	v_add_co_u32 v4, vcc_lo, v5, v4
	v_add_co_ci_u32_e32 v5, vcc_lo, 0, v6, vcc_lo
	s_delay_alu instid0(VALU_DEP_2) | instskip(NEXT) | instid1(VALU_DEP_2)
	v_add_co_u32 v0, vcc_lo, v0, v4
	v_add_co_ci_u32_e32 v3, vcc_lo, v3, v5, vcc_lo
	s_delay_alu instid0(VALU_DEP_2) | instskip(SKIP_1) | instid1(VALU_DEP_3)
	v_mul_hi_u32 v4, s2, v0
	v_mul_lo_u32 v6, s5, v0
	v_mul_lo_u32 v5, s2, v3
	s_delay_alu instid0(VALU_DEP_1) | instskip(SKIP_1) | instid1(VALU_DEP_2)
	v_add_nc_u32_e32 v4, v4, v5
	v_mul_lo_u32 v5, s2, v0
	v_add_nc_u32_e32 v4, v4, v6
	s_delay_alu instid0(VALU_DEP_2) | instskip(NEXT) | instid1(VALU_DEP_2)
	v_mul_hi_u32 v6, v0, v5
	v_mul_lo_u32 v7, v0, v4
	v_mul_hi_u32 v8, v0, v4
	v_mul_hi_u32 v10, v3, v5
	v_mul_lo_u32 v5, v3, v5
	v_mul_hi_u32 v11, v3, v4
	v_mul_lo_u32 v4, v3, v4
	v_add_co_u32 v6, vcc_lo, v6, v7
	v_add_co_ci_u32_e32 v7, vcc_lo, 0, v8, vcc_lo
	s_delay_alu instid0(VALU_DEP_2) | instskip(NEXT) | instid1(VALU_DEP_2)
	v_add_co_u32 v5, vcc_lo, v6, v5
	v_add_co_ci_u32_e32 v5, vcc_lo, v7, v10, vcc_lo
	v_add_co_ci_u32_e32 v6, vcc_lo, 0, v11, vcc_lo
	v_add_co_u32 v7, vcc_lo, v1, v9
	v_add_co_ci_u32_e32 v8, vcc_lo, v2, v9, vcc_lo
	s_delay_alu instid0(VALU_DEP_4) | instskip(NEXT) | instid1(VALU_DEP_4)
	v_add_co_u32 v4, vcc_lo, v5, v4
	v_add_co_ci_u32_e32 v5, vcc_lo, 0, v6, vcc_lo
	s_delay_alu instid0(VALU_DEP_4) | instskip(NEXT) | instid1(VALU_DEP_3)
	v_xor_b32_e32 v10, v7, v9
	v_add_co_u32 v0, vcc_lo, v0, v4
	s_delay_alu instid0(VALU_DEP_3) | instskip(SKIP_1) | instid1(VALU_DEP_3)
	v_add_co_ci_u32_e32 v11, vcc_lo, v3, v5, vcc_lo
	v_xor_b32_e32 v12, v8, v9
	v_mul_hi_u32 v13, v10, v0
	s_delay_alu instid0(VALU_DEP_3) | instskip(NEXT) | instid1(VALU_DEP_3)
	v_mad_u64_u32 v[3:4], null, v10, v11, 0
	v_mad_u64_u32 v[5:6], null, v12, v0, 0
	;; [unrolled: 1-line block ×3, first 2 shown]
	s_delay_alu instid0(VALU_DEP_3) | instskip(NEXT) | instid1(VALU_DEP_4)
	v_add_co_u32 v0, vcc_lo, v13, v3
	v_add_co_ci_u32_e32 v3, vcc_lo, 0, v4, vcc_lo
	s_delay_alu instid0(VALU_DEP_2) | instskip(NEXT) | instid1(VALU_DEP_2)
	v_add_co_u32 v0, vcc_lo, v0, v5
	v_add_co_ci_u32_e32 v0, vcc_lo, v3, v6, vcc_lo
	v_add_co_ci_u32_e32 v3, vcc_lo, 0, v8, vcc_lo
	s_delay_alu instid0(VALU_DEP_2) | instskip(NEXT) | instid1(VALU_DEP_2)
	v_add_co_u32 v0, vcc_lo, v0, v7
	v_add_co_ci_u32_e32 v5, vcc_lo, 0, v3, vcc_lo
	s_delay_alu instid0(VALU_DEP_2) | instskip(SKIP_1) | instid1(VALU_DEP_3)
	v_mul_lo_u32 v6, s9, v0
	v_mad_u64_u32 v[3:4], null, s8, v0, 0
	v_mul_lo_u32 v7, s8, v5
	s_delay_alu instid0(VALU_DEP_2) | instskip(NEXT) | instid1(VALU_DEP_2)
	v_sub_co_u32 v3, vcc_lo, v10, v3
	v_add3_u32 v4, v4, v7, v6
	s_delay_alu instid0(VALU_DEP_1) | instskip(NEXT) | instid1(VALU_DEP_1)
	v_sub_nc_u32_e32 v6, v12, v4
	v_subrev_co_ci_u32_e64 v6, s2, s9, v6, vcc_lo
	v_add_co_u32 v7, s2, v0, 2
	s_delay_alu instid0(VALU_DEP_1) | instskip(SKIP_3) | instid1(VALU_DEP_3)
	v_add_co_ci_u32_e64 v8, s2, 0, v5, s2
	v_sub_co_u32 v10, s2, v3, s8
	v_sub_co_ci_u32_e32 v4, vcc_lo, v12, v4, vcc_lo
	v_subrev_co_ci_u32_e64 v6, s2, 0, v6, s2
	v_cmp_le_u32_e32 vcc_lo, s8, v10
	s_delay_alu instid0(VALU_DEP_3) | instskip(SKIP_1) | instid1(VALU_DEP_4)
	v_cmp_eq_u32_e64 s2, s9, v4
	v_cndmask_b32_e64 v10, 0, -1, vcc_lo
	v_cmp_le_u32_e32 vcc_lo, s9, v6
	v_cndmask_b32_e64 v11, 0, -1, vcc_lo
	v_cmp_le_u32_e32 vcc_lo, s8, v3
	;; [unrolled: 2-line block ×3, first 2 shown]
	v_cndmask_b32_e64 v12, 0, -1, vcc_lo
	v_cmp_eq_u32_e32 vcc_lo, s9, v6
	s_delay_alu instid0(VALU_DEP_2) | instskip(SKIP_3) | instid1(VALU_DEP_3)
	v_cndmask_b32_e64 v3, v12, v3, s2
	v_cndmask_b32_e32 v6, v11, v10, vcc_lo
	v_add_co_u32 v10, vcc_lo, v0, 1
	v_add_co_ci_u32_e32 v11, vcc_lo, 0, v5, vcc_lo
	v_cmp_ne_u32_e32 vcc_lo, 0, v6
	s_delay_alu instid0(VALU_DEP_2) | instskip(NEXT) | instid1(VALU_DEP_4)
	v_cndmask_b32_e32 v4, v11, v8, vcc_lo
	v_cndmask_b32_e32 v6, v10, v7, vcc_lo
	v_cmp_ne_u32_e32 vcc_lo, 0, v3
	v_xor_b32_e32 v7, s4, v9
	s_delay_alu instid0(VALU_DEP_3) | instskip(NEXT) | instid1(VALU_DEP_1)
	v_dual_cndmask_b32 v0, v0, v6 :: v_dual_cndmask_b32 v3, v5, v4
	v_xor_b32_e32 v0, v0, v7
	s_delay_alu instid0(VALU_DEP_2) | instskip(NEXT) | instid1(VALU_DEP_2)
	v_xor_b32_e32 v4, v3, v7
	v_sub_co_u32 v3, vcc_lo, v0, v7
	s_delay_alu instid0(VALU_DEP_2)
	v_sub_co_ci_u32_e32 v4, vcc_lo, v4, v7, vcc_lo
.LBB37_3:
	s_and_not1_saveexec_b32 s2, s3
	s_cbranch_execz .LBB37_5
; %bb.4:
	v_cvt_f32_u32_e32 v0, s6
	s_sub_i32 s3, 0, s6
	s_delay_alu instid0(VALU_DEP_1) | instskip(SKIP_2) | instid1(VALU_DEP_1)
	v_rcp_iflag_f32_e32 v0, v0
	s_waitcnt_depctr 0xfff
	v_mul_f32_e32 v0, 0x4f7ffffe, v0
	v_cvt_u32_f32_e32 v0, v0
	s_delay_alu instid0(VALU_DEP_1) | instskip(NEXT) | instid1(VALU_DEP_1)
	v_mul_lo_u32 v3, s3, v0
	v_mul_hi_u32 v3, v0, v3
	s_delay_alu instid0(VALU_DEP_1) | instskip(NEXT) | instid1(VALU_DEP_1)
	v_add_nc_u32_e32 v0, v0, v3
	v_mul_hi_u32 v0, v1, v0
	s_delay_alu instid0(VALU_DEP_1) | instskip(SKIP_1) | instid1(VALU_DEP_2)
	v_mul_lo_u32 v3, v0, s6
	v_add_nc_u32_e32 v4, 1, v0
	v_sub_nc_u32_e32 v3, v1, v3
	s_delay_alu instid0(VALU_DEP_1) | instskip(SKIP_1) | instid1(VALU_DEP_2)
	v_subrev_nc_u32_e32 v5, s6, v3
	v_cmp_le_u32_e32 vcc_lo, s6, v3
	v_dual_cndmask_b32 v3, v3, v5 :: v_dual_cndmask_b32 v0, v0, v4
	s_delay_alu instid0(VALU_DEP_1) | instskip(NEXT) | instid1(VALU_DEP_2)
	v_cmp_le_u32_e32 vcc_lo, s6, v3
	v_add_nc_u32_e32 v4, 1, v0
	s_delay_alu instid0(VALU_DEP_1)
	v_dual_cndmask_b32 v3, v0, v4 :: v_dual_mov_b32 v4, 0
.LBB37_5:
	s_or_b32 exec_lo, exec_lo, s2
	s_clause 0x1
	s_load_b128 s[20:23], s[0:1], 0x90
	s_load_b128 s[16:19], s[0:1], 0x38
	v_mul_lo_u32 v0, v4, s6
	v_mul_lo_u32 v6, v3, s7
	v_mad_u64_u32 v[4:5], null, v3, s6, 0
	s_clause 0x1
	s_load_b256 s[4:11], s[0:1], 0x18
	s_load_b64 s[2:3], s[0:1], 0x0
	s_delay_alu instid0(VALU_DEP_1) | instskip(NEXT) | instid1(VALU_DEP_2)
	v_add3_u32 v0, v5, v6, v0
	v_sub_co_u32 v6, vcc_lo, v1, v4
	s_delay_alu instid0(VALU_DEP_2)
	v_sub_co_ci_u32_e32 v2, vcc_lo, v2, v0, vcc_lo
	s_waitcnt lgkmcnt(0)
	s_sub_i32 s7, 0, s20
	s_max_i32 s13, s20, 0
	s_max_i32 s7, s7, 0
	s_sub_i32 s5, 0, s21
	s_sub_i32 s7, s7, s13
	s_add_i32 s4, s20, s4
	s_add_i32 s6, s21, s6
	s_add_i32 s4, s4, -1
	s_add_i32 s6, s6, -1
	v_maxmin_i32 v1, s20, v3, s4
	v_maxmin_i32 v0, s21, v6, s6
	s_max_i32 s12, s21, 0
	s_max_i32 s5, s5, 0
	s_add_i32 s15, s15, s23
	v_add_nc_u32_e32 v4, s7, v1
	s_sub_i32 s6, s5, s12
	s_ashr_i32 s12, s15, 31
	v_add_nc_u32_e32 v7, s6, v0
	s_mul_i32 s5, s8, s12
	v_ashrrev_i32_e32 v0, 31, v4
	s_mul_hi_u32 s21, s8, s15
	s_mul_i32 s9, s9, s15
	s_add_i32 s5, s21, s5
	v_ashrrev_i32_e32 v5, 31, v7
	v_mul_lo_u32 v8, s16, v0
	v_mul_lo_u32 v9, s17, v4
	v_mad_u64_u32 v[0:1], null, s16, v4, 0
	s_add_i32 s5, s5, s9
	s_mul_i32 s4, s8, s15
	s_add_i32 s14, s14, s22
	s_lshl_b64 s[4:5], s[4:5], 3
	v_mul_lo_u32 v10, s18, v5
	v_mul_lo_u32 v11, s19, v7
	v_mad_u64_u32 v[4:5], null, s18, v7, 0
	s_add_u32 s4, s2, s4
	s_addc_u32 s5, s3, s5
	s_ashr_i32 s13, s14, 31
	v_add3_u32 v1, v1, v8, v9
	s_mul_i32 s2, s10, s13
	s_mul_hi_u32 s3, s10, s14
	s_delay_alu instid0(VALU_DEP_2)
	v_add3_u32 v5, v5, v10, v11
	s_add_i32 s2, s3, s2
	s_mul_i32 s3, s11, s14
	v_lshlrev_b64 v[0:1], 3, v[0:1]
	s_add_i32 s3, s2, s3
	s_mul_i32 s2, s10, s14
	v_lshlrev_b64 v[4:5], 3, v[4:5]
	s_lshl_b64 s[2:3], s[2:3], 3
	s_delay_alu instid0(SALU_CYCLE_1) | instskip(SKIP_3) | instid1(VALU_DEP_2)
	s_add_u32 s2, s4, s2
	s_addc_u32 s3, s5, s3
	v_add_co_u32 v0, vcc_lo, s2, v0
	v_add_co_ci_u32_e32 v1, vcc_lo, s3, v1, vcc_lo
	v_add_co_u32 v0, vcc_lo, v0, v4
	s_delay_alu instid0(VALU_DEP_2)
	v_add_co_ci_u32_e32 v1, vcc_lo, v1, v5, vcc_lo
	v_ashrrev_i32_e32 v4, 31, v3
	global_load_b64 v[0:1], v[0:1], off
	s_clause 0x1
	s_load_b256 s[4:11], s[0:1], 0x70
	s_load_b64 s[0:1], s[0:1], 0x48
	s_waitcnt lgkmcnt(0)
	v_mul_lo_u32 v7, s9, v3
	v_mul_lo_u32 v8, s8, v4
	v_mad_u64_u32 v[4:5], null, s8, v3, 0
	s_mul_i32 s2, s4, s12
	s_mul_hi_u32 s3, s4, s15
	v_mul_lo_u32 v9, s11, v6
	s_add_i32 s2, s3, s2
	s_mul_i32 s3, s5, s15
	v_mul_lo_u32 v10, s10, v2
	s_add_i32 s3, s2, s3
	s_mul_i32 s2, s4, s15
	v_mad_u64_u32 v[2:3], null, s10, v6, 0
	s_lshl_b64 s[2:3], s[2:3], 3
	v_add3_u32 v5, v5, v8, v7
	s_add_u32 s2, s0, s2
	s_mul_i32 s0, s6, s13
	s_mul_hi_u32 s4, s6, s14
	s_addc_u32 s3, s1, s3
	s_add_i32 s0, s4, s0
	s_mul_i32 s1, s7, s14
	v_add3_u32 v3, v3, v10, v9
	s_add_i32 s1, s0, s1
	s_mul_i32 s0, s6, s14
	v_lshlrev_b64 v[4:5], 3, v[4:5]
	s_lshl_b64 s[0:1], s[0:1], 3
	v_lshlrev_b64 v[2:3], 3, v[2:3]
	s_add_u32 s0, s2, s0
	s_addc_u32 s1, s3, s1
	s_delay_alu instid0(VALU_DEP_2) | instskip(SKIP_1) | instid1(VALU_DEP_2)
	v_add_co_u32 v4, vcc_lo, s0, v4
	v_add_co_ci_u32_e32 v5, vcc_lo, s1, v5, vcc_lo
	v_add_co_u32 v2, vcc_lo, v4, v2
	s_delay_alu instid0(VALU_DEP_2)
	v_add_co_ci_u32_e32 v3, vcc_lo, v5, v3, vcc_lo
	s_waitcnt vmcnt(0)
	global_store_b64 v[2:3], v[0:1], off
.LBB37_6:
	s_nop 0
	s_sendmsg sendmsg(MSG_DEALLOC_VGPRS)
	s_endpgm
	.section	.rodata,"a",@progbits
	.p2align	6, 0x0
	.amdhsa_kernel _ZN2at6native12_GLOBAL__N_132replication_pad_forward_kernel2dIN3c107complexIfEEEEvN5torch10headeronly6detail27GenericPackedTensorAccessorINS8_14TensorAccessorINS3_8ArrayRefIlEEKT_Lm3ENS7_16DefaultPtrTraitsElEENS_6detail16IndexBoundsCheckILm4ElEESE_Lm4ESF_lEENS9_INSA_ISC_SD_Lm3ESF_lEESJ_SD_Lm4ESF_lEEiiii
		.amdhsa_group_segment_fixed_size 0
		.amdhsa_private_segment_fixed_size 0
		.amdhsa_kernarg_size 416
		.amdhsa_user_sgpr_count 13
		.amdhsa_user_sgpr_dispatch_ptr 0
		.amdhsa_user_sgpr_queue_ptr 0
		.amdhsa_user_sgpr_kernarg_segment_ptr 1
		.amdhsa_user_sgpr_dispatch_id 0
		.amdhsa_user_sgpr_private_segment_size 0
		.amdhsa_wavefront_size32 1
		.amdhsa_uses_dynamic_stack 0
		.amdhsa_enable_private_segment 0
		.amdhsa_system_sgpr_workgroup_id_x 1
		.amdhsa_system_sgpr_workgroup_id_y 1
		.amdhsa_system_sgpr_workgroup_id_z 1
		.amdhsa_system_sgpr_workgroup_info 0
		.amdhsa_system_vgpr_workitem_id 0
		.amdhsa_next_free_vgpr 14
		.amdhsa_next_free_sgpr 24
		.amdhsa_reserve_vcc 1
		.amdhsa_float_round_mode_32 0
		.amdhsa_float_round_mode_16_64 0
		.amdhsa_float_denorm_mode_32 3
		.amdhsa_float_denorm_mode_16_64 3
		.amdhsa_dx10_clamp 1
		.amdhsa_ieee_mode 1
		.amdhsa_fp16_overflow 0
		.amdhsa_workgroup_processor_mode 1
		.amdhsa_memory_ordered 1
		.amdhsa_forward_progress 0
		.amdhsa_shared_vgpr_count 0
		.amdhsa_exception_fp_ieee_invalid_op 0
		.amdhsa_exception_fp_denorm_src 0
		.amdhsa_exception_fp_ieee_div_zero 0
		.amdhsa_exception_fp_ieee_overflow 0
		.amdhsa_exception_fp_ieee_underflow 0
		.amdhsa_exception_fp_ieee_inexact 0
		.amdhsa_exception_int_div_zero 0
	.end_amdhsa_kernel
	.section	.text._ZN2at6native12_GLOBAL__N_132replication_pad_forward_kernel2dIN3c107complexIfEEEEvN5torch10headeronly6detail27GenericPackedTensorAccessorINS8_14TensorAccessorINS3_8ArrayRefIlEEKT_Lm3ENS7_16DefaultPtrTraitsElEENS_6detail16IndexBoundsCheckILm4ElEESE_Lm4ESF_lEENS9_INSA_ISC_SD_Lm3ESF_lEESJ_SD_Lm4ESF_lEEiiii,"axG",@progbits,_ZN2at6native12_GLOBAL__N_132replication_pad_forward_kernel2dIN3c107complexIfEEEEvN5torch10headeronly6detail27GenericPackedTensorAccessorINS8_14TensorAccessorINS3_8ArrayRefIlEEKT_Lm3ENS7_16DefaultPtrTraitsElEENS_6detail16IndexBoundsCheckILm4ElEESE_Lm4ESF_lEENS9_INSA_ISC_SD_Lm3ESF_lEESJ_SD_Lm4ESF_lEEiiii,comdat
.Lfunc_end37:
	.size	_ZN2at6native12_GLOBAL__N_132replication_pad_forward_kernel2dIN3c107complexIfEEEEvN5torch10headeronly6detail27GenericPackedTensorAccessorINS8_14TensorAccessorINS3_8ArrayRefIlEEKT_Lm3ENS7_16DefaultPtrTraitsElEENS_6detail16IndexBoundsCheckILm4ElEESE_Lm4ESF_lEENS9_INSA_ISC_SD_Lm3ESF_lEESJ_SD_Lm4ESF_lEEiiii, .Lfunc_end37-_ZN2at6native12_GLOBAL__N_132replication_pad_forward_kernel2dIN3c107complexIfEEEEvN5torch10headeronly6detail27GenericPackedTensorAccessorINS8_14TensorAccessorINS3_8ArrayRefIlEEKT_Lm3ENS7_16DefaultPtrTraitsElEENS_6detail16IndexBoundsCheckILm4ElEESE_Lm4ESF_lEENS9_INSA_ISC_SD_Lm3ESF_lEESJ_SD_Lm4ESF_lEEiiii
                                        ; -- End function
	.section	.AMDGPU.csdata,"",@progbits
; Kernel info:
; codeLenInByte = 1716
; NumSgprs: 26
; NumVgprs: 14
; ScratchSize: 0
; MemoryBound: 0
; FloatMode: 240
; IeeeMode: 1
; LDSByteSize: 0 bytes/workgroup (compile time only)
; SGPRBlocks: 3
; VGPRBlocks: 1
; NumSGPRsForWavesPerEU: 26
; NumVGPRsForWavesPerEU: 14
; Occupancy: 16
; WaveLimiterHint : 1
; COMPUTE_PGM_RSRC2:SCRATCH_EN: 0
; COMPUTE_PGM_RSRC2:USER_SGPR: 13
; COMPUTE_PGM_RSRC2:TRAP_HANDLER: 0
; COMPUTE_PGM_RSRC2:TGID_X_EN: 1
; COMPUTE_PGM_RSRC2:TGID_Y_EN: 1
; COMPUTE_PGM_RSRC2:TGID_Z_EN: 1
; COMPUTE_PGM_RSRC2:TIDIG_COMP_CNT: 0
	.section	.text._ZN2at6native12_GLOBAL__N_132replication_pad_forward_kernel2dIN3c104HalfEEEvN5torch10headeronly6detail27GenericPackedTensorAccessorINS7_14TensorAccessorINS3_8ArrayRefIlEEKT_Lm3ENS6_16DefaultPtrTraitsElEENS_6detail16IndexBoundsCheckILm4ElEESD_Lm4ESE_lEENS8_INS9_ISB_SC_Lm3ESE_lEESI_SC_Lm4ESE_lEEiiii,"axG",@progbits,_ZN2at6native12_GLOBAL__N_132replication_pad_forward_kernel2dIN3c104HalfEEEvN5torch10headeronly6detail27GenericPackedTensorAccessorINS7_14TensorAccessorINS3_8ArrayRefIlEEKT_Lm3ENS6_16DefaultPtrTraitsElEENS_6detail16IndexBoundsCheckILm4ElEESD_Lm4ESE_lEENS8_INS9_ISB_SC_Lm3ESE_lEESI_SC_Lm4ESE_lEEiiii,comdat
	.globl	_ZN2at6native12_GLOBAL__N_132replication_pad_forward_kernel2dIN3c104HalfEEEvN5torch10headeronly6detail27GenericPackedTensorAccessorINS7_14TensorAccessorINS3_8ArrayRefIlEEKT_Lm3ENS6_16DefaultPtrTraitsElEENS_6detail16IndexBoundsCheckILm4ElEESD_Lm4ESE_lEENS8_INS9_ISB_SC_Lm3ESE_lEESI_SC_Lm4ESE_lEEiiii ; -- Begin function _ZN2at6native12_GLOBAL__N_132replication_pad_forward_kernel2dIN3c104HalfEEEvN5torch10headeronly6detail27GenericPackedTensorAccessorINS7_14TensorAccessorINS3_8ArrayRefIlEEKT_Lm3ENS6_16DefaultPtrTraitsElEENS_6detail16IndexBoundsCheckILm4ElEESD_Lm4ESE_lEENS8_INS9_ISB_SC_Lm3ESE_lEESI_SC_Lm4ESE_lEEiiii
	.p2align	8
	.type	_ZN2at6native12_GLOBAL__N_132replication_pad_forward_kernel2dIN3c104HalfEEEvN5torch10headeronly6detail27GenericPackedTensorAccessorINS7_14TensorAccessorINS3_8ArrayRefIlEEKT_Lm3ENS6_16DefaultPtrTraitsElEENS_6detail16IndexBoundsCheckILm4ElEESD_Lm4ESE_lEENS8_INS9_ISB_SC_Lm3ESE_lEESI_SC_Lm4ESE_lEEiiii,@function
_ZN2at6native12_GLOBAL__N_132replication_pad_forward_kernel2dIN3c104HalfEEEvN5torch10headeronly6detail27GenericPackedTensorAccessorINS7_14TensorAccessorINS3_8ArrayRefIlEEKT_Lm3ENS6_16DefaultPtrTraitsElEENS_6detail16IndexBoundsCheckILm4ElEESD_Lm4ESE_lEENS8_INS9_ISB_SC_Lm3ESE_lEESI_SC_Lm4ESE_lEEiiii: ; @_ZN2at6native12_GLOBAL__N_132replication_pad_forward_kernel2dIN3c104HalfEEEvN5torch10headeronly6detail27GenericPackedTensorAccessorINS7_14TensorAccessorINS3_8ArrayRefIlEEKT_Lm3ENS6_16DefaultPtrTraitsElEENS_6detail16IndexBoundsCheckILm4ElEESD_Lm4ESE_lEENS8_INS9_ISB_SC_Lm3ESE_lEESI_SC_Lm4ESE_lEEiiii
; %bb.0:
	s_clause 0x1
	s_load_b32 s2, s[0:1], 0xac
	s_load_b128 s[4:7], s[0:1], 0x60
	s_waitcnt lgkmcnt(0)
	s_and_b32 s2, s2, 0xffff
	s_mul_hi_u32 s3, s6, s4
	v_mad_u64_u32 v[1:2], null, s13, s2, v[0:1]
	s_mul_i32 s2, s6, s5
	s_delay_alu instid0(SALU_CYCLE_1) | instskip(SKIP_1) | instid1(SALU_CYCLE_1)
	s_add_i32 s2, s3, s2
	s_mul_i32 s3, s7, s4
	s_add_i32 s3, s2, s3
	s_delay_alu instid0(VALU_DEP_1)
	v_ashrrev_i32_e32 v2, 31, v1
	s_mul_i32 s2, s6, s4
	s_delay_alu instid0(VALU_DEP_1) | instid1(SALU_CYCLE_1)
	v_cmp_gt_i64_e32 vcc_lo, s[2:3], v[1:2]
	s_and_saveexec_b32 s2, vcc_lo
	s_cbranch_execz .LBB38_6
; %bb.1:
	v_or_b32_e32 v4, s7, v2
	v_mov_b32_e32 v3, 0
	s_delay_alu instid0(VALU_DEP_1) | instskip(SKIP_1) | instid1(SALU_CYCLE_1)
	v_cmp_ne_u64_e32 vcc_lo, 0, v[3:4]
                                        ; implicit-def: $vgpr3_vgpr4
	s_and_saveexec_b32 s2, vcc_lo
	s_xor_b32 s3, exec_lo, s2
	s_cbranch_execz .LBB38_3
; %bb.2:
	s_ashr_i32 s4, s7, 31
	s_delay_alu instid0(SALU_CYCLE_1) | instskip(SKIP_2) | instid1(SALU_CYCLE_1)
	s_add_u32 s8, s6, s4
	s_mov_b32 s5, s4
	s_addc_u32 s9, s7, s4
	s_xor_b64 s[8:9], s[8:9], s[4:5]
	s_delay_alu instid0(SALU_CYCLE_1) | instskip(SKIP_3) | instid1(VALU_DEP_1)
	v_cvt_f32_u32_e32 v0, s8
	v_cvt_f32_u32_e32 v3, s9
	s_sub_u32 s2, 0, s8
	s_subb_u32 s5, 0, s9
	v_fmamk_f32 v0, v3, 0x4f800000, v0
	s_delay_alu instid0(VALU_DEP_1) | instskip(SKIP_2) | instid1(VALU_DEP_1)
	v_rcp_f32_e32 v0, v0
	s_waitcnt_depctr 0xfff
	v_mul_f32_e32 v0, 0x5f7ffffc, v0
	v_mul_f32_e32 v3, 0x2f800000, v0
	s_delay_alu instid0(VALU_DEP_1) | instskip(NEXT) | instid1(VALU_DEP_1)
	v_trunc_f32_e32 v3, v3
	v_fmamk_f32 v0, v3, 0xcf800000, v0
	v_cvt_u32_f32_e32 v3, v3
	s_delay_alu instid0(VALU_DEP_2) | instskip(NEXT) | instid1(VALU_DEP_2)
	v_cvt_u32_f32_e32 v0, v0
	v_mul_lo_u32 v4, s2, v3
	s_delay_alu instid0(VALU_DEP_2) | instskip(SKIP_1) | instid1(VALU_DEP_2)
	v_mul_hi_u32 v5, s2, v0
	v_mul_lo_u32 v6, s5, v0
	v_add_nc_u32_e32 v4, v5, v4
	v_mul_lo_u32 v5, s2, v0
	s_delay_alu instid0(VALU_DEP_2) | instskip(NEXT) | instid1(VALU_DEP_2)
	v_add_nc_u32_e32 v4, v4, v6
	v_mul_hi_u32 v6, v0, v5
	s_delay_alu instid0(VALU_DEP_2)
	v_mul_lo_u32 v7, v0, v4
	v_mul_hi_u32 v8, v0, v4
	v_mul_hi_u32 v9, v3, v5
	v_mul_lo_u32 v5, v3, v5
	v_mul_hi_u32 v10, v3, v4
	v_mul_lo_u32 v4, v3, v4
	v_add_co_u32 v6, vcc_lo, v6, v7
	v_add_co_ci_u32_e32 v7, vcc_lo, 0, v8, vcc_lo
	s_delay_alu instid0(VALU_DEP_2) | instskip(NEXT) | instid1(VALU_DEP_2)
	v_add_co_u32 v5, vcc_lo, v6, v5
	v_add_co_ci_u32_e32 v5, vcc_lo, v7, v9, vcc_lo
	v_add_co_ci_u32_e32 v6, vcc_lo, 0, v10, vcc_lo
	v_ashrrev_i32_e32 v9, 31, v2
	s_delay_alu instid0(VALU_DEP_3) | instskip(NEXT) | instid1(VALU_DEP_3)
	v_add_co_u32 v4, vcc_lo, v5, v4
	v_add_co_ci_u32_e32 v5, vcc_lo, 0, v6, vcc_lo
	s_delay_alu instid0(VALU_DEP_2) | instskip(NEXT) | instid1(VALU_DEP_2)
	v_add_co_u32 v0, vcc_lo, v0, v4
	v_add_co_ci_u32_e32 v3, vcc_lo, v3, v5, vcc_lo
	s_delay_alu instid0(VALU_DEP_2) | instskip(SKIP_1) | instid1(VALU_DEP_3)
	v_mul_hi_u32 v4, s2, v0
	v_mul_lo_u32 v6, s5, v0
	v_mul_lo_u32 v5, s2, v3
	s_delay_alu instid0(VALU_DEP_1) | instskip(SKIP_1) | instid1(VALU_DEP_2)
	v_add_nc_u32_e32 v4, v4, v5
	v_mul_lo_u32 v5, s2, v0
	v_add_nc_u32_e32 v4, v4, v6
	s_delay_alu instid0(VALU_DEP_2) | instskip(NEXT) | instid1(VALU_DEP_2)
	v_mul_hi_u32 v6, v0, v5
	v_mul_lo_u32 v7, v0, v4
	v_mul_hi_u32 v8, v0, v4
	v_mul_hi_u32 v10, v3, v5
	v_mul_lo_u32 v5, v3, v5
	v_mul_hi_u32 v11, v3, v4
	v_mul_lo_u32 v4, v3, v4
	v_add_co_u32 v6, vcc_lo, v6, v7
	v_add_co_ci_u32_e32 v7, vcc_lo, 0, v8, vcc_lo
	s_delay_alu instid0(VALU_DEP_2) | instskip(NEXT) | instid1(VALU_DEP_2)
	v_add_co_u32 v5, vcc_lo, v6, v5
	v_add_co_ci_u32_e32 v5, vcc_lo, v7, v10, vcc_lo
	v_add_co_ci_u32_e32 v6, vcc_lo, 0, v11, vcc_lo
	v_add_co_u32 v7, vcc_lo, v1, v9
	v_add_co_ci_u32_e32 v8, vcc_lo, v2, v9, vcc_lo
	s_delay_alu instid0(VALU_DEP_4) | instskip(NEXT) | instid1(VALU_DEP_4)
	v_add_co_u32 v4, vcc_lo, v5, v4
	v_add_co_ci_u32_e32 v5, vcc_lo, 0, v6, vcc_lo
	s_delay_alu instid0(VALU_DEP_4) | instskip(NEXT) | instid1(VALU_DEP_3)
	v_xor_b32_e32 v10, v7, v9
	v_add_co_u32 v0, vcc_lo, v0, v4
	s_delay_alu instid0(VALU_DEP_3) | instskip(SKIP_1) | instid1(VALU_DEP_3)
	v_add_co_ci_u32_e32 v11, vcc_lo, v3, v5, vcc_lo
	v_xor_b32_e32 v12, v8, v9
	v_mul_hi_u32 v13, v10, v0
	s_delay_alu instid0(VALU_DEP_3) | instskip(NEXT) | instid1(VALU_DEP_3)
	v_mad_u64_u32 v[3:4], null, v10, v11, 0
	v_mad_u64_u32 v[5:6], null, v12, v0, 0
	;; [unrolled: 1-line block ×3, first 2 shown]
	s_delay_alu instid0(VALU_DEP_3) | instskip(NEXT) | instid1(VALU_DEP_4)
	v_add_co_u32 v0, vcc_lo, v13, v3
	v_add_co_ci_u32_e32 v3, vcc_lo, 0, v4, vcc_lo
	s_delay_alu instid0(VALU_DEP_2) | instskip(NEXT) | instid1(VALU_DEP_2)
	v_add_co_u32 v0, vcc_lo, v0, v5
	v_add_co_ci_u32_e32 v0, vcc_lo, v3, v6, vcc_lo
	v_add_co_ci_u32_e32 v3, vcc_lo, 0, v8, vcc_lo
	s_delay_alu instid0(VALU_DEP_2) | instskip(NEXT) | instid1(VALU_DEP_2)
	v_add_co_u32 v0, vcc_lo, v0, v7
	v_add_co_ci_u32_e32 v5, vcc_lo, 0, v3, vcc_lo
	s_delay_alu instid0(VALU_DEP_2) | instskip(SKIP_1) | instid1(VALU_DEP_3)
	v_mul_lo_u32 v6, s9, v0
	v_mad_u64_u32 v[3:4], null, s8, v0, 0
	v_mul_lo_u32 v7, s8, v5
	s_delay_alu instid0(VALU_DEP_2) | instskip(NEXT) | instid1(VALU_DEP_2)
	v_sub_co_u32 v3, vcc_lo, v10, v3
	v_add3_u32 v4, v4, v7, v6
	s_delay_alu instid0(VALU_DEP_1) | instskip(NEXT) | instid1(VALU_DEP_1)
	v_sub_nc_u32_e32 v6, v12, v4
	v_subrev_co_ci_u32_e64 v6, s2, s9, v6, vcc_lo
	v_add_co_u32 v7, s2, v0, 2
	s_delay_alu instid0(VALU_DEP_1) | instskip(SKIP_3) | instid1(VALU_DEP_3)
	v_add_co_ci_u32_e64 v8, s2, 0, v5, s2
	v_sub_co_u32 v10, s2, v3, s8
	v_sub_co_ci_u32_e32 v4, vcc_lo, v12, v4, vcc_lo
	v_subrev_co_ci_u32_e64 v6, s2, 0, v6, s2
	v_cmp_le_u32_e32 vcc_lo, s8, v10
	s_delay_alu instid0(VALU_DEP_3) | instskip(SKIP_1) | instid1(VALU_DEP_4)
	v_cmp_eq_u32_e64 s2, s9, v4
	v_cndmask_b32_e64 v10, 0, -1, vcc_lo
	v_cmp_le_u32_e32 vcc_lo, s9, v6
	v_cndmask_b32_e64 v11, 0, -1, vcc_lo
	v_cmp_le_u32_e32 vcc_lo, s8, v3
	;; [unrolled: 2-line block ×3, first 2 shown]
	v_cndmask_b32_e64 v12, 0, -1, vcc_lo
	v_cmp_eq_u32_e32 vcc_lo, s9, v6
	s_delay_alu instid0(VALU_DEP_2) | instskip(SKIP_3) | instid1(VALU_DEP_3)
	v_cndmask_b32_e64 v3, v12, v3, s2
	v_cndmask_b32_e32 v6, v11, v10, vcc_lo
	v_add_co_u32 v10, vcc_lo, v0, 1
	v_add_co_ci_u32_e32 v11, vcc_lo, 0, v5, vcc_lo
	v_cmp_ne_u32_e32 vcc_lo, 0, v6
	s_delay_alu instid0(VALU_DEP_2) | instskip(NEXT) | instid1(VALU_DEP_4)
	v_cndmask_b32_e32 v4, v11, v8, vcc_lo
	v_cndmask_b32_e32 v6, v10, v7, vcc_lo
	v_cmp_ne_u32_e32 vcc_lo, 0, v3
	v_xor_b32_e32 v7, s4, v9
	s_delay_alu instid0(VALU_DEP_3) | instskip(NEXT) | instid1(VALU_DEP_1)
	v_dual_cndmask_b32 v0, v0, v6 :: v_dual_cndmask_b32 v3, v5, v4
	v_xor_b32_e32 v0, v0, v7
	s_delay_alu instid0(VALU_DEP_2) | instskip(NEXT) | instid1(VALU_DEP_2)
	v_xor_b32_e32 v4, v3, v7
	v_sub_co_u32 v3, vcc_lo, v0, v7
	s_delay_alu instid0(VALU_DEP_2)
	v_sub_co_ci_u32_e32 v4, vcc_lo, v4, v7, vcc_lo
.LBB38_3:
	s_and_not1_saveexec_b32 s2, s3
	s_cbranch_execz .LBB38_5
; %bb.4:
	v_cvt_f32_u32_e32 v0, s6
	s_sub_i32 s3, 0, s6
	s_delay_alu instid0(VALU_DEP_1) | instskip(SKIP_2) | instid1(VALU_DEP_1)
	v_rcp_iflag_f32_e32 v0, v0
	s_waitcnt_depctr 0xfff
	v_mul_f32_e32 v0, 0x4f7ffffe, v0
	v_cvt_u32_f32_e32 v0, v0
	s_delay_alu instid0(VALU_DEP_1) | instskip(NEXT) | instid1(VALU_DEP_1)
	v_mul_lo_u32 v3, s3, v0
	v_mul_hi_u32 v3, v0, v3
	s_delay_alu instid0(VALU_DEP_1) | instskip(NEXT) | instid1(VALU_DEP_1)
	v_add_nc_u32_e32 v0, v0, v3
	v_mul_hi_u32 v0, v1, v0
	s_delay_alu instid0(VALU_DEP_1) | instskip(SKIP_1) | instid1(VALU_DEP_2)
	v_mul_lo_u32 v3, v0, s6
	v_add_nc_u32_e32 v4, 1, v0
	v_sub_nc_u32_e32 v3, v1, v3
	s_delay_alu instid0(VALU_DEP_1) | instskip(SKIP_1) | instid1(VALU_DEP_2)
	v_subrev_nc_u32_e32 v5, s6, v3
	v_cmp_le_u32_e32 vcc_lo, s6, v3
	v_dual_cndmask_b32 v3, v3, v5 :: v_dual_cndmask_b32 v0, v0, v4
	s_delay_alu instid0(VALU_DEP_1) | instskip(NEXT) | instid1(VALU_DEP_2)
	v_cmp_le_u32_e32 vcc_lo, s6, v3
	v_add_nc_u32_e32 v4, 1, v0
	s_delay_alu instid0(VALU_DEP_1)
	v_dual_cndmask_b32 v3, v0, v4 :: v_dual_mov_b32 v4, 0
.LBB38_5:
	s_or_b32 exec_lo, exec_lo, s2
	s_clause 0x1
	s_load_b128 s[20:23], s[0:1], 0x90
	s_load_b128 s[16:19], s[0:1], 0x38
	v_mul_lo_u32 v0, v4, s6
	v_mul_lo_u32 v6, v3, s7
	v_mad_u64_u32 v[4:5], null, v3, s6, 0
	s_clause 0x1
	s_load_b256 s[4:11], s[0:1], 0x18
	s_load_b64 s[2:3], s[0:1], 0x0
	s_delay_alu instid0(VALU_DEP_1) | instskip(NEXT) | instid1(VALU_DEP_2)
	v_add3_u32 v0, v5, v6, v0
	v_sub_co_u32 v6, vcc_lo, v1, v4
	s_delay_alu instid0(VALU_DEP_2)
	v_sub_co_ci_u32_e32 v2, vcc_lo, v2, v0, vcc_lo
	s_waitcnt lgkmcnt(0)
	s_sub_i32 s7, 0, s20
	s_max_i32 s13, s20, 0
	s_max_i32 s7, s7, 0
	s_sub_i32 s5, 0, s21
	s_sub_i32 s7, s7, s13
	s_add_i32 s4, s20, s4
	s_add_i32 s6, s21, s6
	s_add_i32 s4, s4, -1
	s_add_i32 s6, s6, -1
	v_maxmin_i32 v1, s20, v3, s4
	v_maxmin_i32 v0, s21, v6, s6
	s_max_i32 s12, s21, 0
	s_max_i32 s5, s5, 0
	s_add_i32 s15, s15, s23
	v_add_nc_u32_e32 v4, s7, v1
	s_sub_i32 s6, s5, s12
	s_ashr_i32 s12, s15, 31
	v_add_nc_u32_e32 v7, s6, v0
	s_mul_i32 s5, s8, s12
	v_ashrrev_i32_e32 v0, 31, v4
	s_mul_hi_u32 s21, s8, s15
	s_mul_i32 s9, s9, s15
	s_add_i32 s5, s21, s5
	v_ashrrev_i32_e32 v5, 31, v7
	v_mul_lo_u32 v8, s16, v0
	v_mul_lo_u32 v9, s17, v4
	v_mad_u64_u32 v[0:1], null, s16, v4, 0
	s_add_i32 s5, s5, s9
	s_mul_i32 s4, s8, s15
	s_add_i32 s14, s14, s22
	s_lshl_b64 s[4:5], s[4:5], 1
	v_mul_lo_u32 v10, s18, v5
	v_mul_lo_u32 v11, s19, v7
	v_mad_u64_u32 v[4:5], null, s18, v7, 0
	s_add_u32 s4, s2, s4
	s_addc_u32 s5, s3, s5
	s_ashr_i32 s13, s14, 31
	v_add3_u32 v1, v1, v8, v9
	s_mul_i32 s2, s10, s13
	s_mul_hi_u32 s3, s10, s14
	s_delay_alu instid0(VALU_DEP_2)
	v_add3_u32 v5, v5, v10, v11
	s_add_i32 s2, s3, s2
	s_mul_i32 s3, s11, s14
	v_lshlrev_b64 v[0:1], 1, v[0:1]
	s_add_i32 s3, s2, s3
	s_mul_i32 s2, s10, s14
	v_lshlrev_b64 v[4:5], 1, v[4:5]
	s_lshl_b64 s[2:3], s[2:3], 1
	s_delay_alu instid0(SALU_CYCLE_1) | instskip(SKIP_3) | instid1(VALU_DEP_2)
	s_add_u32 s2, s4, s2
	s_addc_u32 s3, s5, s3
	v_add_co_u32 v0, vcc_lo, s2, v0
	v_add_co_ci_u32_e32 v1, vcc_lo, s3, v1, vcc_lo
	v_add_co_u32 v0, vcc_lo, v0, v4
	s_delay_alu instid0(VALU_DEP_2)
	v_add_co_ci_u32_e32 v1, vcc_lo, v1, v5, vcc_lo
	global_load_u16 v4, v[0:1], off
	s_clause 0x1
	s_load_b256 s[4:11], s[0:1], 0x70
	s_load_b64 s[0:1], s[0:1], 0x48
	v_ashrrev_i32_e32 v0, 31, v3
	s_waitcnt lgkmcnt(0)
	v_mul_lo_u32 v5, s9, v3
	s_delay_alu instid0(VALU_DEP_2)
	v_mul_lo_u32 v7, s8, v0
	v_mad_u64_u32 v[0:1], null, s8, v3, 0
	s_mul_i32 s2, s4, s12
	s_mul_hi_u32 s3, s4, s15
	v_mul_lo_u32 v8, s11, v6
	s_add_i32 s2, s3, s2
	s_mul_i32 s3, s5, s15
	v_mul_lo_u32 v9, s10, v2
	s_add_i32 s3, s2, s3
	s_mul_i32 s2, s4, s15
	v_mad_u64_u32 v[2:3], null, s10, v6, 0
	s_lshl_b64 s[2:3], s[2:3], 1
	v_add3_u32 v1, v1, v7, v5
	s_add_u32 s2, s0, s2
	s_mul_i32 s0, s6, s13
	s_mul_hi_u32 s4, s6, s14
	s_addc_u32 s3, s1, s3
	s_add_i32 s0, s4, s0
	s_mul_i32 s1, s7, s14
	v_add3_u32 v3, v3, v9, v8
	s_add_i32 s1, s0, s1
	s_mul_i32 s0, s6, s14
	v_lshlrev_b64 v[0:1], 1, v[0:1]
	s_lshl_b64 s[0:1], s[0:1], 1
	v_lshlrev_b64 v[2:3], 1, v[2:3]
	s_add_u32 s0, s2, s0
	s_addc_u32 s1, s3, s1
	s_delay_alu instid0(VALU_DEP_2) | instskip(SKIP_1) | instid1(VALU_DEP_2)
	v_add_co_u32 v0, vcc_lo, s0, v0
	v_add_co_ci_u32_e32 v1, vcc_lo, s1, v1, vcc_lo
	v_add_co_u32 v0, vcc_lo, v0, v2
	s_delay_alu instid0(VALU_DEP_2)
	v_add_co_ci_u32_e32 v1, vcc_lo, v1, v3, vcc_lo
	s_waitcnt vmcnt(0)
	global_store_b16 v[0:1], v4, off
.LBB38_6:
	s_nop 0
	s_sendmsg sendmsg(MSG_DEALLOC_VGPRS)
	s_endpgm
	.section	.rodata,"a",@progbits
	.p2align	6, 0x0
	.amdhsa_kernel _ZN2at6native12_GLOBAL__N_132replication_pad_forward_kernel2dIN3c104HalfEEEvN5torch10headeronly6detail27GenericPackedTensorAccessorINS7_14TensorAccessorINS3_8ArrayRefIlEEKT_Lm3ENS6_16DefaultPtrTraitsElEENS_6detail16IndexBoundsCheckILm4ElEESD_Lm4ESE_lEENS8_INS9_ISB_SC_Lm3ESE_lEESI_SC_Lm4ESE_lEEiiii
		.amdhsa_group_segment_fixed_size 0
		.amdhsa_private_segment_fixed_size 0
		.amdhsa_kernarg_size 416
		.amdhsa_user_sgpr_count 13
		.amdhsa_user_sgpr_dispatch_ptr 0
		.amdhsa_user_sgpr_queue_ptr 0
		.amdhsa_user_sgpr_kernarg_segment_ptr 1
		.amdhsa_user_sgpr_dispatch_id 0
		.amdhsa_user_sgpr_private_segment_size 0
		.amdhsa_wavefront_size32 1
		.amdhsa_uses_dynamic_stack 0
		.amdhsa_enable_private_segment 0
		.amdhsa_system_sgpr_workgroup_id_x 1
		.amdhsa_system_sgpr_workgroup_id_y 1
		.amdhsa_system_sgpr_workgroup_id_z 1
		.amdhsa_system_sgpr_workgroup_info 0
		.amdhsa_system_vgpr_workitem_id 0
		.amdhsa_next_free_vgpr 14
		.amdhsa_next_free_sgpr 24
		.amdhsa_reserve_vcc 1
		.amdhsa_float_round_mode_32 0
		.amdhsa_float_round_mode_16_64 0
		.amdhsa_float_denorm_mode_32 3
		.amdhsa_float_denorm_mode_16_64 3
		.amdhsa_dx10_clamp 1
		.amdhsa_ieee_mode 1
		.amdhsa_fp16_overflow 0
		.amdhsa_workgroup_processor_mode 1
		.amdhsa_memory_ordered 1
		.amdhsa_forward_progress 0
		.amdhsa_shared_vgpr_count 0
		.amdhsa_exception_fp_ieee_invalid_op 0
		.amdhsa_exception_fp_denorm_src 0
		.amdhsa_exception_fp_ieee_div_zero 0
		.amdhsa_exception_fp_ieee_overflow 0
		.amdhsa_exception_fp_ieee_underflow 0
		.amdhsa_exception_fp_ieee_inexact 0
		.amdhsa_exception_int_div_zero 0
	.end_amdhsa_kernel
	.section	.text._ZN2at6native12_GLOBAL__N_132replication_pad_forward_kernel2dIN3c104HalfEEEvN5torch10headeronly6detail27GenericPackedTensorAccessorINS7_14TensorAccessorINS3_8ArrayRefIlEEKT_Lm3ENS6_16DefaultPtrTraitsElEENS_6detail16IndexBoundsCheckILm4ElEESD_Lm4ESE_lEENS8_INS9_ISB_SC_Lm3ESE_lEESI_SC_Lm4ESE_lEEiiii,"axG",@progbits,_ZN2at6native12_GLOBAL__N_132replication_pad_forward_kernel2dIN3c104HalfEEEvN5torch10headeronly6detail27GenericPackedTensorAccessorINS7_14TensorAccessorINS3_8ArrayRefIlEEKT_Lm3ENS6_16DefaultPtrTraitsElEENS_6detail16IndexBoundsCheckILm4ElEESD_Lm4ESE_lEENS8_INS9_ISB_SC_Lm3ESE_lEESI_SC_Lm4ESE_lEEiiii,comdat
.Lfunc_end38:
	.size	_ZN2at6native12_GLOBAL__N_132replication_pad_forward_kernel2dIN3c104HalfEEEvN5torch10headeronly6detail27GenericPackedTensorAccessorINS7_14TensorAccessorINS3_8ArrayRefIlEEKT_Lm3ENS6_16DefaultPtrTraitsElEENS_6detail16IndexBoundsCheckILm4ElEESD_Lm4ESE_lEENS8_INS9_ISB_SC_Lm3ESE_lEESI_SC_Lm4ESE_lEEiiii, .Lfunc_end38-_ZN2at6native12_GLOBAL__N_132replication_pad_forward_kernel2dIN3c104HalfEEEvN5torch10headeronly6detail27GenericPackedTensorAccessorINS7_14TensorAccessorINS3_8ArrayRefIlEEKT_Lm3ENS6_16DefaultPtrTraitsElEENS_6detail16IndexBoundsCheckILm4ElEESD_Lm4ESE_lEENS8_INS9_ISB_SC_Lm3ESE_lEESI_SC_Lm4ESE_lEEiiii
                                        ; -- End function
	.section	.AMDGPU.csdata,"",@progbits
; Kernel info:
; codeLenInByte = 1720
; NumSgprs: 26
; NumVgprs: 14
; ScratchSize: 0
; MemoryBound: 0
; FloatMode: 240
; IeeeMode: 1
; LDSByteSize: 0 bytes/workgroup (compile time only)
; SGPRBlocks: 3
; VGPRBlocks: 1
; NumSGPRsForWavesPerEU: 26
; NumVGPRsForWavesPerEU: 14
; Occupancy: 16
; WaveLimiterHint : 1
; COMPUTE_PGM_RSRC2:SCRATCH_EN: 0
; COMPUTE_PGM_RSRC2:USER_SGPR: 13
; COMPUTE_PGM_RSRC2:TRAP_HANDLER: 0
; COMPUTE_PGM_RSRC2:TGID_X_EN: 1
; COMPUTE_PGM_RSRC2:TGID_Y_EN: 1
; COMPUTE_PGM_RSRC2:TGID_Z_EN: 1
; COMPUTE_PGM_RSRC2:TIDIG_COMP_CNT: 0
	.section	.text._ZN2at6native12_GLOBAL__N_132replication_pad_forward_kernel2dIN3c108BFloat16EEEvN5torch10headeronly6detail27GenericPackedTensorAccessorINS7_14TensorAccessorINS3_8ArrayRefIlEEKT_Lm3ENS6_16DefaultPtrTraitsElEENS_6detail16IndexBoundsCheckILm4ElEESD_Lm4ESE_lEENS8_INS9_ISB_SC_Lm3ESE_lEESI_SC_Lm4ESE_lEEiiii,"axG",@progbits,_ZN2at6native12_GLOBAL__N_132replication_pad_forward_kernel2dIN3c108BFloat16EEEvN5torch10headeronly6detail27GenericPackedTensorAccessorINS7_14TensorAccessorINS3_8ArrayRefIlEEKT_Lm3ENS6_16DefaultPtrTraitsElEENS_6detail16IndexBoundsCheckILm4ElEESD_Lm4ESE_lEENS8_INS9_ISB_SC_Lm3ESE_lEESI_SC_Lm4ESE_lEEiiii,comdat
	.globl	_ZN2at6native12_GLOBAL__N_132replication_pad_forward_kernel2dIN3c108BFloat16EEEvN5torch10headeronly6detail27GenericPackedTensorAccessorINS7_14TensorAccessorINS3_8ArrayRefIlEEKT_Lm3ENS6_16DefaultPtrTraitsElEENS_6detail16IndexBoundsCheckILm4ElEESD_Lm4ESE_lEENS8_INS9_ISB_SC_Lm3ESE_lEESI_SC_Lm4ESE_lEEiiii ; -- Begin function _ZN2at6native12_GLOBAL__N_132replication_pad_forward_kernel2dIN3c108BFloat16EEEvN5torch10headeronly6detail27GenericPackedTensorAccessorINS7_14TensorAccessorINS3_8ArrayRefIlEEKT_Lm3ENS6_16DefaultPtrTraitsElEENS_6detail16IndexBoundsCheckILm4ElEESD_Lm4ESE_lEENS8_INS9_ISB_SC_Lm3ESE_lEESI_SC_Lm4ESE_lEEiiii
	.p2align	8
	.type	_ZN2at6native12_GLOBAL__N_132replication_pad_forward_kernel2dIN3c108BFloat16EEEvN5torch10headeronly6detail27GenericPackedTensorAccessorINS7_14TensorAccessorINS3_8ArrayRefIlEEKT_Lm3ENS6_16DefaultPtrTraitsElEENS_6detail16IndexBoundsCheckILm4ElEESD_Lm4ESE_lEENS8_INS9_ISB_SC_Lm3ESE_lEESI_SC_Lm4ESE_lEEiiii,@function
_ZN2at6native12_GLOBAL__N_132replication_pad_forward_kernel2dIN3c108BFloat16EEEvN5torch10headeronly6detail27GenericPackedTensorAccessorINS7_14TensorAccessorINS3_8ArrayRefIlEEKT_Lm3ENS6_16DefaultPtrTraitsElEENS_6detail16IndexBoundsCheckILm4ElEESD_Lm4ESE_lEENS8_INS9_ISB_SC_Lm3ESE_lEESI_SC_Lm4ESE_lEEiiii: ; @_ZN2at6native12_GLOBAL__N_132replication_pad_forward_kernel2dIN3c108BFloat16EEEvN5torch10headeronly6detail27GenericPackedTensorAccessorINS7_14TensorAccessorINS3_8ArrayRefIlEEKT_Lm3ENS6_16DefaultPtrTraitsElEENS_6detail16IndexBoundsCheckILm4ElEESD_Lm4ESE_lEENS8_INS9_ISB_SC_Lm3ESE_lEESI_SC_Lm4ESE_lEEiiii
; %bb.0:
	s_clause 0x1
	s_load_b32 s2, s[0:1], 0xac
	s_load_b128 s[4:7], s[0:1], 0x60
	s_waitcnt lgkmcnt(0)
	s_and_b32 s2, s2, 0xffff
	s_mul_hi_u32 s3, s6, s4
	v_mad_u64_u32 v[1:2], null, s13, s2, v[0:1]
	s_mul_i32 s2, s6, s5
	s_delay_alu instid0(SALU_CYCLE_1) | instskip(SKIP_1) | instid1(SALU_CYCLE_1)
	s_add_i32 s2, s3, s2
	s_mul_i32 s3, s7, s4
	s_add_i32 s3, s2, s3
	s_delay_alu instid0(VALU_DEP_1)
	v_ashrrev_i32_e32 v2, 31, v1
	s_mul_i32 s2, s6, s4
	s_delay_alu instid0(VALU_DEP_1) | instid1(SALU_CYCLE_1)
	v_cmp_gt_i64_e32 vcc_lo, s[2:3], v[1:2]
	s_and_saveexec_b32 s2, vcc_lo
	s_cbranch_execz .LBB39_6
; %bb.1:
	v_or_b32_e32 v4, s7, v2
	v_mov_b32_e32 v3, 0
	s_delay_alu instid0(VALU_DEP_1) | instskip(SKIP_1) | instid1(SALU_CYCLE_1)
	v_cmp_ne_u64_e32 vcc_lo, 0, v[3:4]
                                        ; implicit-def: $vgpr3_vgpr4
	s_and_saveexec_b32 s2, vcc_lo
	s_xor_b32 s3, exec_lo, s2
	s_cbranch_execz .LBB39_3
; %bb.2:
	s_ashr_i32 s4, s7, 31
	s_delay_alu instid0(SALU_CYCLE_1) | instskip(SKIP_2) | instid1(SALU_CYCLE_1)
	s_add_u32 s8, s6, s4
	s_mov_b32 s5, s4
	s_addc_u32 s9, s7, s4
	s_xor_b64 s[8:9], s[8:9], s[4:5]
	s_delay_alu instid0(SALU_CYCLE_1) | instskip(SKIP_3) | instid1(VALU_DEP_1)
	v_cvt_f32_u32_e32 v0, s8
	v_cvt_f32_u32_e32 v3, s9
	s_sub_u32 s2, 0, s8
	s_subb_u32 s5, 0, s9
	v_fmamk_f32 v0, v3, 0x4f800000, v0
	s_delay_alu instid0(VALU_DEP_1) | instskip(SKIP_2) | instid1(VALU_DEP_1)
	v_rcp_f32_e32 v0, v0
	s_waitcnt_depctr 0xfff
	v_mul_f32_e32 v0, 0x5f7ffffc, v0
	v_mul_f32_e32 v3, 0x2f800000, v0
	s_delay_alu instid0(VALU_DEP_1) | instskip(NEXT) | instid1(VALU_DEP_1)
	v_trunc_f32_e32 v3, v3
	v_fmamk_f32 v0, v3, 0xcf800000, v0
	v_cvt_u32_f32_e32 v3, v3
	s_delay_alu instid0(VALU_DEP_2) | instskip(NEXT) | instid1(VALU_DEP_2)
	v_cvt_u32_f32_e32 v0, v0
	v_mul_lo_u32 v4, s2, v3
	s_delay_alu instid0(VALU_DEP_2) | instskip(SKIP_1) | instid1(VALU_DEP_2)
	v_mul_hi_u32 v5, s2, v0
	v_mul_lo_u32 v6, s5, v0
	v_add_nc_u32_e32 v4, v5, v4
	v_mul_lo_u32 v5, s2, v0
	s_delay_alu instid0(VALU_DEP_2) | instskip(NEXT) | instid1(VALU_DEP_2)
	v_add_nc_u32_e32 v4, v4, v6
	v_mul_hi_u32 v6, v0, v5
	s_delay_alu instid0(VALU_DEP_2)
	v_mul_lo_u32 v7, v0, v4
	v_mul_hi_u32 v8, v0, v4
	v_mul_hi_u32 v9, v3, v5
	v_mul_lo_u32 v5, v3, v5
	v_mul_hi_u32 v10, v3, v4
	v_mul_lo_u32 v4, v3, v4
	v_add_co_u32 v6, vcc_lo, v6, v7
	v_add_co_ci_u32_e32 v7, vcc_lo, 0, v8, vcc_lo
	s_delay_alu instid0(VALU_DEP_2) | instskip(NEXT) | instid1(VALU_DEP_2)
	v_add_co_u32 v5, vcc_lo, v6, v5
	v_add_co_ci_u32_e32 v5, vcc_lo, v7, v9, vcc_lo
	v_add_co_ci_u32_e32 v6, vcc_lo, 0, v10, vcc_lo
	v_ashrrev_i32_e32 v9, 31, v2
	s_delay_alu instid0(VALU_DEP_3) | instskip(NEXT) | instid1(VALU_DEP_3)
	v_add_co_u32 v4, vcc_lo, v5, v4
	v_add_co_ci_u32_e32 v5, vcc_lo, 0, v6, vcc_lo
	s_delay_alu instid0(VALU_DEP_2) | instskip(NEXT) | instid1(VALU_DEP_2)
	v_add_co_u32 v0, vcc_lo, v0, v4
	v_add_co_ci_u32_e32 v3, vcc_lo, v3, v5, vcc_lo
	s_delay_alu instid0(VALU_DEP_2) | instskip(SKIP_1) | instid1(VALU_DEP_3)
	v_mul_hi_u32 v4, s2, v0
	v_mul_lo_u32 v6, s5, v0
	v_mul_lo_u32 v5, s2, v3
	s_delay_alu instid0(VALU_DEP_1) | instskip(SKIP_1) | instid1(VALU_DEP_2)
	v_add_nc_u32_e32 v4, v4, v5
	v_mul_lo_u32 v5, s2, v0
	v_add_nc_u32_e32 v4, v4, v6
	s_delay_alu instid0(VALU_DEP_2) | instskip(NEXT) | instid1(VALU_DEP_2)
	v_mul_hi_u32 v6, v0, v5
	v_mul_lo_u32 v7, v0, v4
	v_mul_hi_u32 v8, v0, v4
	v_mul_hi_u32 v10, v3, v5
	v_mul_lo_u32 v5, v3, v5
	v_mul_hi_u32 v11, v3, v4
	v_mul_lo_u32 v4, v3, v4
	v_add_co_u32 v6, vcc_lo, v6, v7
	v_add_co_ci_u32_e32 v7, vcc_lo, 0, v8, vcc_lo
	s_delay_alu instid0(VALU_DEP_2) | instskip(NEXT) | instid1(VALU_DEP_2)
	v_add_co_u32 v5, vcc_lo, v6, v5
	v_add_co_ci_u32_e32 v5, vcc_lo, v7, v10, vcc_lo
	v_add_co_ci_u32_e32 v6, vcc_lo, 0, v11, vcc_lo
	v_add_co_u32 v7, vcc_lo, v1, v9
	v_add_co_ci_u32_e32 v8, vcc_lo, v2, v9, vcc_lo
	s_delay_alu instid0(VALU_DEP_4) | instskip(NEXT) | instid1(VALU_DEP_4)
	v_add_co_u32 v4, vcc_lo, v5, v4
	v_add_co_ci_u32_e32 v5, vcc_lo, 0, v6, vcc_lo
	s_delay_alu instid0(VALU_DEP_4) | instskip(NEXT) | instid1(VALU_DEP_3)
	v_xor_b32_e32 v10, v7, v9
	v_add_co_u32 v0, vcc_lo, v0, v4
	s_delay_alu instid0(VALU_DEP_3) | instskip(SKIP_1) | instid1(VALU_DEP_3)
	v_add_co_ci_u32_e32 v11, vcc_lo, v3, v5, vcc_lo
	v_xor_b32_e32 v12, v8, v9
	v_mul_hi_u32 v13, v10, v0
	s_delay_alu instid0(VALU_DEP_3) | instskip(NEXT) | instid1(VALU_DEP_3)
	v_mad_u64_u32 v[3:4], null, v10, v11, 0
	v_mad_u64_u32 v[5:6], null, v12, v0, 0
	;; [unrolled: 1-line block ×3, first 2 shown]
	s_delay_alu instid0(VALU_DEP_3) | instskip(NEXT) | instid1(VALU_DEP_4)
	v_add_co_u32 v0, vcc_lo, v13, v3
	v_add_co_ci_u32_e32 v3, vcc_lo, 0, v4, vcc_lo
	s_delay_alu instid0(VALU_DEP_2) | instskip(NEXT) | instid1(VALU_DEP_2)
	v_add_co_u32 v0, vcc_lo, v0, v5
	v_add_co_ci_u32_e32 v0, vcc_lo, v3, v6, vcc_lo
	v_add_co_ci_u32_e32 v3, vcc_lo, 0, v8, vcc_lo
	s_delay_alu instid0(VALU_DEP_2) | instskip(NEXT) | instid1(VALU_DEP_2)
	v_add_co_u32 v0, vcc_lo, v0, v7
	v_add_co_ci_u32_e32 v5, vcc_lo, 0, v3, vcc_lo
	s_delay_alu instid0(VALU_DEP_2) | instskip(SKIP_1) | instid1(VALU_DEP_3)
	v_mul_lo_u32 v6, s9, v0
	v_mad_u64_u32 v[3:4], null, s8, v0, 0
	v_mul_lo_u32 v7, s8, v5
	s_delay_alu instid0(VALU_DEP_2) | instskip(NEXT) | instid1(VALU_DEP_2)
	v_sub_co_u32 v3, vcc_lo, v10, v3
	v_add3_u32 v4, v4, v7, v6
	s_delay_alu instid0(VALU_DEP_1) | instskip(NEXT) | instid1(VALU_DEP_1)
	v_sub_nc_u32_e32 v6, v12, v4
	v_subrev_co_ci_u32_e64 v6, s2, s9, v6, vcc_lo
	v_add_co_u32 v7, s2, v0, 2
	s_delay_alu instid0(VALU_DEP_1) | instskip(SKIP_3) | instid1(VALU_DEP_3)
	v_add_co_ci_u32_e64 v8, s2, 0, v5, s2
	v_sub_co_u32 v10, s2, v3, s8
	v_sub_co_ci_u32_e32 v4, vcc_lo, v12, v4, vcc_lo
	v_subrev_co_ci_u32_e64 v6, s2, 0, v6, s2
	v_cmp_le_u32_e32 vcc_lo, s8, v10
	s_delay_alu instid0(VALU_DEP_3) | instskip(SKIP_1) | instid1(VALU_DEP_4)
	v_cmp_eq_u32_e64 s2, s9, v4
	v_cndmask_b32_e64 v10, 0, -1, vcc_lo
	v_cmp_le_u32_e32 vcc_lo, s9, v6
	v_cndmask_b32_e64 v11, 0, -1, vcc_lo
	v_cmp_le_u32_e32 vcc_lo, s8, v3
	;; [unrolled: 2-line block ×3, first 2 shown]
	v_cndmask_b32_e64 v12, 0, -1, vcc_lo
	v_cmp_eq_u32_e32 vcc_lo, s9, v6
	s_delay_alu instid0(VALU_DEP_2) | instskip(SKIP_3) | instid1(VALU_DEP_3)
	v_cndmask_b32_e64 v3, v12, v3, s2
	v_cndmask_b32_e32 v6, v11, v10, vcc_lo
	v_add_co_u32 v10, vcc_lo, v0, 1
	v_add_co_ci_u32_e32 v11, vcc_lo, 0, v5, vcc_lo
	v_cmp_ne_u32_e32 vcc_lo, 0, v6
	s_delay_alu instid0(VALU_DEP_2) | instskip(NEXT) | instid1(VALU_DEP_4)
	v_cndmask_b32_e32 v4, v11, v8, vcc_lo
	v_cndmask_b32_e32 v6, v10, v7, vcc_lo
	v_cmp_ne_u32_e32 vcc_lo, 0, v3
	v_xor_b32_e32 v7, s4, v9
	s_delay_alu instid0(VALU_DEP_3) | instskip(NEXT) | instid1(VALU_DEP_1)
	v_dual_cndmask_b32 v0, v0, v6 :: v_dual_cndmask_b32 v3, v5, v4
	v_xor_b32_e32 v0, v0, v7
	s_delay_alu instid0(VALU_DEP_2) | instskip(NEXT) | instid1(VALU_DEP_2)
	v_xor_b32_e32 v4, v3, v7
	v_sub_co_u32 v3, vcc_lo, v0, v7
	s_delay_alu instid0(VALU_DEP_2)
	v_sub_co_ci_u32_e32 v4, vcc_lo, v4, v7, vcc_lo
.LBB39_3:
	s_and_not1_saveexec_b32 s2, s3
	s_cbranch_execz .LBB39_5
; %bb.4:
	v_cvt_f32_u32_e32 v0, s6
	s_sub_i32 s3, 0, s6
	s_delay_alu instid0(VALU_DEP_1) | instskip(SKIP_2) | instid1(VALU_DEP_1)
	v_rcp_iflag_f32_e32 v0, v0
	s_waitcnt_depctr 0xfff
	v_mul_f32_e32 v0, 0x4f7ffffe, v0
	v_cvt_u32_f32_e32 v0, v0
	s_delay_alu instid0(VALU_DEP_1) | instskip(NEXT) | instid1(VALU_DEP_1)
	v_mul_lo_u32 v3, s3, v0
	v_mul_hi_u32 v3, v0, v3
	s_delay_alu instid0(VALU_DEP_1) | instskip(NEXT) | instid1(VALU_DEP_1)
	v_add_nc_u32_e32 v0, v0, v3
	v_mul_hi_u32 v0, v1, v0
	s_delay_alu instid0(VALU_DEP_1) | instskip(SKIP_1) | instid1(VALU_DEP_2)
	v_mul_lo_u32 v3, v0, s6
	v_add_nc_u32_e32 v4, 1, v0
	v_sub_nc_u32_e32 v3, v1, v3
	s_delay_alu instid0(VALU_DEP_1) | instskip(SKIP_1) | instid1(VALU_DEP_2)
	v_subrev_nc_u32_e32 v5, s6, v3
	v_cmp_le_u32_e32 vcc_lo, s6, v3
	v_dual_cndmask_b32 v3, v3, v5 :: v_dual_cndmask_b32 v0, v0, v4
	s_delay_alu instid0(VALU_DEP_1) | instskip(NEXT) | instid1(VALU_DEP_2)
	v_cmp_le_u32_e32 vcc_lo, s6, v3
	v_add_nc_u32_e32 v4, 1, v0
	s_delay_alu instid0(VALU_DEP_1)
	v_dual_cndmask_b32 v3, v0, v4 :: v_dual_mov_b32 v4, 0
.LBB39_5:
	s_or_b32 exec_lo, exec_lo, s2
	s_clause 0x1
	s_load_b128 s[20:23], s[0:1], 0x90
	s_load_b128 s[16:19], s[0:1], 0x38
	v_mul_lo_u32 v0, v4, s6
	v_mul_lo_u32 v6, v3, s7
	v_mad_u64_u32 v[4:5], null, v3, s6, 0
	s_clause 0x1
	s_load_b256 s[4:11], s[0:1], 0x18
	s_load_b64 s[2:3], s[0:1], 0x0
	s_delay_alu instid0(VALU_DEP_1) | instskip(NEXT) | instid1(VALU_DEP_2)
	v_add3_u32 v0, v5, v6, v0
	v_sub_co_u32 v6, vcc_lo, v1, v4
	s_delay_alu instid0(VALU_DEP_2)
	v_sub_co_ci_u32_e32 v2, vcc_lo, v2, v0, vcc_lo
	s_waitcnt lgkmcnt(0)
	s_sub_i32 s7, 0, s20
	s_max_i32 s13, s20, 0
	s_max_i32 s7, s7, 0
	s_sub_i32 s5, 0, s21
	s_sub_i32 s7, s7, s13
	s_add_i32 s4, s20, s4
	s_add_i32 s6, s21, s6
	s_add_i32 s4, s4, -1
	s_add_i32 s6, s6, -1
	v_maxmin_i32 v1, s20, v3, s4
	v_maxmin_i32 v0, s21, v6, s6
	s_max_i32 s12, s21, 0
	s_max_i32 s5, s5, 0
	s_add_i32 s15, s15, s23
	v_add_nc_u32_e32 v4, s7, v1
	s_sub_i32 s6, s5, s12
	s_ashr_i32 s12, s15, 31
	v_add_nc_u32_e32 v7, s6, v0
	s_mul_i32 s5, s8, s12
	v_ashrrev_i32_e32 v0, 31, v4
	s_mul_hi_u32 s21, s8, s15
	s_mul_i32 s9, s9, s15
	s_add_i32 s5, s21, s5
	v_ashrrev_i32_e32 v5, 31, v7
	v_mul_lo_u32 v8, s16, v0
	v_mul_lo_u32 v9, s17, v4
	v_mad_u64_u32 v[0:1], null, s16, v4, 0
	s_add_i32 s5, s5, s9
	s_mul_i32 s4, s8, s15
	s_add_i32 s14, s14, s22
	s_lshl_b64 s[4:5], s[4:5], 1
	v_mul_lo_u32 v10, s18, v5
	v_mul_lo_u32 v11, s19, v7
	v_mad_u64_u32 v[4:5], null, s18, v7, 0
	s_add_u32 s4, s2, s4
	s_addc_u32 s5, s3, s5
	s_ashr_i32 s13, s14, 31
	v_add3_u32 v1, v1, v8, v9
	s_mul_i32 s2, s10, s13
	s_mul_hi_u32 s3, s10, s14
	s_delay_alu instid0(VALU_DEP_2)
	v_add3_u32 v5, v5, v10, v11
	s_add_i32 s2, s3, s2
	s_mul_i32 s3, s11, s14
	v_lshlrev_b64 v[0:1], 1, v[0:1]
	s_add_i32 s3, s2, s3
	s_mul_i32 s2, s10, s14
	v_lshlrev_b64 v[4:5], 1, v[4:5]
	s_lshl_b64 s[2:3], s[2:3], 1
	s_delay_alu instid0(SALU_CYCLE_1) | instskip(SKIP_3) | instid1(VALU_DEP_2)
	s_add_u32 s2, s4, s2
	s_addc_u32 s3, s5, s3
	v_add_co_u32 v0, vcc_lo, s2, v0
	v_add_co_ci_u32_e32 v1, vcc_lo, s3, v1, vcc_lo
	v_add_co_u32 v0, vcc_lo, v0, v4
	s_delay_alu instid0(VALU_DEP_2)
	v_add_co_ci_u32_e32 v1, vcc_lo, v1, v5, vcc_lo
	global_load_u16 v4, v[0:1], off
	s_clause 0x1
	s_load_b256 s[4:11], s[0:1], 0x70
	s_load_b64 s[0:1], s[0:1], 0x48
	v_ashrrev_i32_e32 v0, 31, v3
	s_waitcnt lgkmcnt(0)
	v_mul_lo_u32 v5, s9, v3
	s_delay_alu instid0(VALU_DEP_2)
	v_mul_lo_u32 v7, s8, v0
	v_mad_u64_u32 v[0:1], null, s8, v3, 0
	s_mul_i32 s2, s4, s12
	s_mul_hi_u32 s3, s4, s15
	v_mul_lo_u32 v8, s11, v6
	s_add_i32 s2, s3, s2
	s_mul_i32 s3, s5, s15
	v_mul_lo_u32 v9, s10, v2
	s_add_i32 s3, s2, s3
	s_mul_i32 s2, s4, s15
	v_mad_u64_u32 v[2:3], null, s10, v6, 0
	s_lshl_b64 s[2:3], s[2:3], 1
	v_add3_u32 v1, v1, v7, v5
	s_add_u32 s2, s0, s2
	s_mul_i32 s0, s6, s13
	s_mul_hi_u32 s4, s6, s14
	s_addc_u32 s3, s1, s3
	s_add_i32 s0, s4, s0
	s_mul_i32 s1, s7, s14
	v_add3_u32 v3, v3, v9, v8
	s_add_i32 s1, s0, s1
	s_mul_i32 s0, s6, s14
	v_lshlrev_b64 v[0:1], 1, v[0:1]
	s_lshl_b64 s[0:1], s[0:1], 1
	v_lshlrev_b64 v[2:3], 1, v[2:3]
	s_add_u32 s0, s2, s0
	s_addc_u32 s1, s3, s1
	s_delay_alu instid0(VALU_DEP_2) | instskip(SKIP_1) | instid1(VALU_DEP_2)
	v_add_co_u32 v0, vcc_lo, s0, v0
	v_add_co_ci_u32_e32 v1, vcc_lo, s1, v1, vcc_lo
	v_add_co_u32 v0, vcc_lo, v0, v2
	s_delay_alu instid0(VALU_DEP_2)
	v_add_co_ci_u32_e32 v1, vcc_lo, v1, v3, vcc_lo
	s_waitcnt vmcnt(0)
	global_store_b16 v[0:1], v4, off
.LBB39_6:
	s_nop 0
	s_sendmsg sendmsg(MSG_DEALLOC_VGPRS)
	s_endpgm
	.section	.rodata,"a",@progbits
	.p2align	6, 0x0
	.amdhsa_kernel _ZN2at6native12_GLOBAL__N_132replication_pad_forward_kernel2dIN3c108BFloat16EEEvN5torch10headeronly6detail27GenericPackedTensorAccessorINS7_14TensorAccessorINS3_8ArrayRefIlEEKT_Lm3ENS6_16DefaultPtrTraitsElEENS_6detail16IndexBoundsCheckILm4ElEESD_Lm4ESE_lEENS8_INS9_ISB_SC_Lm3ESE_lEESI_SC_Lm4ESE_lEEiiii
		.amdhsa_group_segment_fixed_size 0
		.amdhsa_private_segment_fixed_size 0
		.amdhsa_kernarg_size 416
		.amdhsa_user_sgpr_count 13
		.amdhsa_user_sgpr_dispatch_ptr 0
		.amdhsa_user_sgpr_queue_ptr 0
		.amdhsa_user_sgpr_kernarg_segment_ptr 1
		.amdhsa_user_sgpr_dispatch_id 0
		.amdhsa_user_sgpr_private_segment_size 0
		.amdhsa_wavefront_size32 1
		.amdhsa_uses_dynamic_stack 0
		.amdhsa_enable_private_segment 0
		.amdhsa_system_sgpr_workgroup_id_x 1
		.amdhsa_system_sgpr_workgroup_id_y 1
		.amdhsa_system_sgpr_workgroup_id_z 1
		.amdhsa_system_sgpr_workgroup_info 0
		.amdhsa_system_vgpr_workitem_id 0
		.amdhsa_next_free_vgpr 14
		.amdhsa_next_free_sgpr 24
		.amdhsa_reserve_vcc 1
		.amdhsa_float_round_mode_32 0
		.amdhsa_float_round_mode_16_64 0
		.amdhsa_float_denorm_mode_32 3
		.amdhsa_float_denorm_mode_16_64 3
		.amdhsa_dx10_clamp 1
		.amdhsa_ieee_mode 1
		.amdhsa_fp16_overflow 0
		.amdhsa_workgroup_processor_mode 1
		.amdhsa_memory_ordered 1
		.amdhsa_forward_progress 0
		.amdhsa_shared_vgpr_count 0
		.amdhsa_exception_fp_ieee_invalid_op 0
		.amdhsa_exception_fp_denorm_src 0
		.amdhsa_exception_fp_ieee_div_zero 0
		.amdhsa_exception_fp_ieee_overflow 0
		.amdhsa_exception_fp_ieee_underflow 0
		.amdhsa_exception_fp_ieee_inexact 0
		.amdhsa_exception_int_div_zero 0
	.end_amdhsa_kernel
	.section	.text._ZN2at6native12_GLOBAL__N_132replication_pad_forward_kernel2dIN3c108BFloat16EEEvN5torch10headeronly6detail27GenericPackedTensorAccessorINS7_14TensorAccessorINS3_8ArrayRefIlEEKT_Lm3ENS6_16DefaultPtrTraitsElEENS_6detail16IndexBoundsCheckILm4ElEESD_Lm4ESE_lEENS8_INS9_ISB_SC_Lm3ESE_lEESI_SC_Lm4ESE_lEEiiii,"axG",@progbits,_ZN2at6native12_GLOBAL__N_132replication_pad_forward_kernel2dIN3c108BFloat16EEEvN5torch10headeronly6detail27GenericPackedTensorAccessorINS7_14TensorAccessorINS3_8ArrayRefIlEEKT_Lm3ENS6_16DefaultPtrTraitsElEENS_6detail16IndexBoundsCheckILm4ElEESD_Lm4ESE_lEENS8_INS9_ISB_SC_Lm3ESE_lEESI_SC_Lm4ESE_lEEiiii,comdat
.Lfunc_end39:
	.size	_ZN2at6native12_GLOBAL__N_132replication_pad_forward_kernel2dIN3c108BFloat16EEEvN5torch10headeronly6detail27GenericPackedTensorAccessorINS7_14TensorAccessorINS3_8ArrayRefIlEEKT_Lm3ENS6_16DefaultPtrTraitsElEENS_6detail16IndexBoundsCheckILm4ElEESD_Lm4ESE_lEENS8_INS9_ISB_SC_Lm3ESE_lEESI_SC_Lm4ESE_lEEiiii, .Lfunc_end39-_ZN2at6native12_GLOBAL__N_132replication_pad_forward_kernel2dIN3c108BFloat16EEEvN5torch10headeronly6detail27GenericPackedTensorAccessorINS7_14TensorAccessorINS3_8ArrayRefIlEEKT_Lm3ENS6_16DefaultPtrTraitsElEENS_6detail16IndexBoundsCheckILm4ElEESD_Lm4ESE_lEENS8_INS9_ISB_SC_Lm3ESE_lEESI_SC_Lm4ESE_lEEiiii
                                        ; -- End function
	.section	.AMDGPU.csdata,"",@progbits
; Kernel info:
; codeLenInByte = 1720
; NumSgprs: 26
; NumVgprs: 14
; ScratchSize: 0
; MemoryBound: 0
; FloatMode: 240
; IeeeMode: 1
; LDSByteSize: 0 bytes/workgroup (compile time only)
; SGPRBlocks: 3
; VGPRBlocks: 1
; NumSGPRsForWavesPerEU: 26
; NumVGPRsForWavesPerEU: 14
; Occupancy: 16
; WaveLimiterHint : 1
; COMPUTE_PGM_RSRC2:SCRATCH_EN: 0
; COMPUTE_PGM_RSRC2:USER_SGPR: 13
; COMPUTE_PGM_RSRC2:TRAP_HANDLER: 0
; COMPUTE_PGM_RSRC2:TGID_X_EN: 1
; COMPUTE_PGM_RSRC2:TGID_Y_EN: 1
; COMPUTE_PGM_RSRC2:TGID_Z_EN: 1
; COMPUTE_PGM_RSRC2:TIDIG_COMP_CNT: 0
	.section	.text._ZN2at6native12_GLOBAL__N_132replication_pad_forward_kernel3dIhEEvN5torch10headeronly6detail27GenericPackedTensorAccessorINS5_14TensorAccessorIN3c108ArrayRefIlEEKT_Lm4ENS4_16DefaultPtrTraitsElEENS_6detail16IndexBoundsCheckILm5ElEESC_Lm5ESD_lEENS6_INS7_ISA_SB_Lm4ESD_lEESH_SB_Lm5ESD_lEEiiiii,"axG",@progbits,_ZN2at6native12_GLOBAL__N_132replication_pad_forward_kernel3dIhEEvN5torch10headeronly6detail27GenericPackedTensorAccessorINS5_14TensorAccessorIN3c108ArrayRefIlEEKT_Lm4ENS4_16DefaultPtrTraitsElEENS_6detail16IndexBoundsCheckILm5ElEESC_Lm5ESD_lEENS6_INS7_ISA_SB_Lm4ESD_lEESH_SB_Lm5ESD_lEEiiiii,comdat
	.globl	_ZN2at6native12_GLOBAL__N_132replication_pad_forward_kernel3dIhEEvN5torch10headeronly6detail27GenericPackedTensorAccessorINS5_14TensorAccessorIN3c108ArrayRefIlEEKT_Lm4ENS4_16DefaultPtrTraitsElEENS_6detail16IndexBoundsCheckILm5ElEESC_Lm5ESD_lEENS6_INS7_ISA_SB_Lm4ESD_lEESH_SB_Lm5ESD_lEEiiiii ; -- Begin function _ZN2at6native12_GLOBAL__N_132replication_pad_forward_kernel3dIhEEvN5torch10headeronly6detail27GenericPackedTensorAccessorINS5_14TensorAccessorIN3c108ArrayRefIlEEKT_Lm4ENS4_16DefaultPtrTraitsElEENS_6detail16IndexBoundsCheckILm5ElEESC_Lm5ESD_lEENS6_INS7_ISA_SB_Lm4ESD_lEESH_SB_Lm5ESD_lEEiiiii
	.p2align	8
	.type	_ZN2at6native12_GLOBAL__N_132replication_pad_forward_kernel3dIhEEvN5torch10headeronly6detail27GenericPackedTensorAccessorINS5_14TensorAccessorIN3c108ArrayRefIlEEKT_Lm4ENS4_16DefaultPtrTraitsElEENS_6detail16IndexBoundsCheckILm5ElEESC_Lm5ESD_lEENS6_INS7_ISA_SB_Lm4ESD_lEESH_SB_Lm5ESD_lEEiiiii,@function
_ZN2at6native12_GLOBAL__N_132replication_pad_forward_kernel3dIhEEvN5torch10headeronly6detail27GenericPackedTensorAccessorINS5_14TensorAccessorIN3c108ArrayRefIlEEKT_Lm4ENS4_16DefaultPtrTraitsElEENS_6detail16IndexBoundsCheckILm5ElEESC_Lm5ESD_lEENS6_INS7_ISA_SB_Lm4ESD_lEESH_SB_Lm5ESD_lEEiiiii: ; @_ZN2at6native12_GLOBAL__N_132replication_pad_forward_kernel3dIhEEvN5torch10headeronly6detail27GenericPackedTensorAccessorINS5_14TensorAccessorIN3c108ArrayRefIlEEKT_Lm4ENS4_16DefaultPtrTraitsElEENS_6detail16IndexBoundsCheckILm5ElEESC_Lm5ESD_lEENS6_INS7_ISA_SB_Lm4ESD_lEESH_SB_Lm5ESD_lEEiiiii
; %bb.0:
	s_clause 0x2
	s_load_b32 s2, s[0:1], 0xd4
	s_load_b128 s[4:7], s[0:1], 0x70
	s_load_b64 s[8:9], s[0:1], 0x80
	s_waitcnt lgkmcnt(0)
	s_and_b32 s2, s2, 0xffff
	s_delay_alu instid0(SALU_CYCLE_1)
	v_mad_u64_u32 v[1:2], null, s13, s2, v[0:1]
	s_mul_i32 s10, s8, s7
	s_mul_hi_u32 s11, s8, s6
	s_mul_i32 s2, s9, s6
	s_mul_i32 s3, s8, s6
	s_add_i32 s12, s11, s10
	s_mul_i32 s5, s3, s5
	s_mul_hi_u32 s10, s3, s4
	s_add_i32 s12, s12, s2
	v_ashrrev_i32_e32 v2, 31, v1
	s_add_i32 s2, s10, s5
	s_mul_i32 s5, s12, s4
	s_mul_i32 s4, s3, s4
	s_add_i32 s5, s2, s5
	s_mov_b32 s2, exec_lo
	v_cmpx_gt_i64_e64 s[4:5], v[1:2]
	s_cbranch_execz .LBB40_14
; %bb.1:
	v_or_b32_e32 v4, s9, v2
	v_mov_b32_e32 v3, 0
	s_delay_alu instid0(VALU_DEP_1) | instskip(SKIP_1) | instid1(SALU_CYCLE_1)
	v_cmp_ne_u64_e32 vcc_lo, 0, v[3:4]
                                        ; implicit-def: $vgpr3_vgpr4
	s_and_saveexec_b32 s2, vcc_lo
	s_xor_b32 s13, exec_lo, s2
	s_cbranch_execz .LBB40_3
; %bb.2:
	s_ashr_i32 s4, s9, 31
	s_delay_alu instid0(SALU_CYCLE_1) | instskip(SKIP_2) | instid1(SALU_CYCLE_1)
	s_add_u32 s10, s8, s4
	s_mov_b32 s5, s4
	s_addc_u32 s11, s9, s4
	s_xor_b64 s[10:11], s[10:11], s[4:5]
	s_delay_alu instid0(SALU_CYCLE_1) | instskip(SKIP_3) | instid1(VALU_DEP_1)
	v_cvt_f32_u32_e32 v0, s10
	v_cvt_f32_u32_e32 v3, s11
	s_sub_u32 s2, 0, s10
	s_subb_u32 s5, 0, s11
	v_fmamk_f32 v0, v3, 0x4f800000, v0
	s_delay_alu instid0(VALU_DEP_1) | instskip(SKIP_2) | instid1(VALU_DEP_1)
	v_rcp_f32_e32 v0, v0
	s_waitcnt_depctr 0xfff
	v_mul_f32_e32 v0, 0x5f7ffffc, v0
	v_mul_f32_e32 v3, 0x2f800000, v0
	s_delay_alu instid0(VALU_DEP_1) | instskip(NEXT) | instid1(VALU_DEP_1)
	v_trunc_f32_e32 v3, v3
	v_fmamk_f32 v0, v3, 0xcf800000, v0
	v_cvt_u32_f32_e32 v3, v3
	s_delay_alu instid0(VALU_DEP_2) | instskip(NEXT) | instid1(VALU_DEP_2)
	v_cvt_u32_f32_e32 v0, v0
	v_mul_lo_u32 v4, s2, v3
	s_delay_alu instid0(VALU_DEP_2) | instskip(SKIP_1) | instid1(VALU_DEP_2)
	v_mul_hi_u32 v5, s2, v0
	v_mul_lo_u32 v6, s5, v0
	v_add_nc_u32_e32 v4, v5, v4
	v_mul_lo_u32 v5, s2, v0
	s_delay_alu instid0(VALU_DEP_2) | instskip(NEXT) | instid1(VALU_DEP_2)
	v_add_nc_u32_e32 v4, v4, v6
	v_mul_hi_u32 v6, v0, v5
	s_delay_alu instid0(VALU_DEP_2)
	v_mul_lo_u32 v7, v0, v4
	v_mul_hi_u32 v8, v0, v4
	v_mul_hi_u32 v9, v3, v5
	v_mul_lo_u32 v5, v3, v5
	v_mul_hi_u32 v10, v3, v4
	v_mul_lo_u32 v4, v3, v4
	v_add_co_u32 v6, vcc_lo, v6, v7
	v_add_co_ci_u32_e32 v7, vcc_lo, 0, v8, vcc_lo
	s_delay_alu instid0(VALU_DEP_2) | instskip(NEXT) | instid1(VALU_DEP_2)
	v_add_co_u32 v5, vcc_lo, v6, v5
	v_add_co_ci_u32_e32 v5, vcc_lo, v7, v9, vcc_lo
	v_add_co_ci_u32_e32 v6, vcc_lo, 0, v10, vcc_lo
	v_ashrrev_i32_e32 v9, 31, v2
	s_delay_alu instid0(VALU_DEP_3) | instskip(NEXT) | instid1(VALU_DEP_3)
	v_add_co_u32 v4, vcc_lo, v5, v4
	v_add_co_ci_u32_e32 v5, vcc_lo, 0, v6, vcc_lo
	s_delay_alu instid0(VALU_DEP_2) | instskip(NEXT) | instid1(VALU_DEP_2)
	v_add_co_u32 v0, vcc_lo, v0, v4
	v_add_co_ci_u32_e32 v3, vcc_lo, v3, v5, vcc_lo
	s_delay_alu instid0(VALU_DEP_2) | instskip(SKIP_1) | instid1(VALU_DEP_3)
	v_mul_hi_u32 v4, s2, v0
	v_mul_lo_u32 v6, s5, v0
	v_mul_lo_u32 v5, s2, v3
	s_delay_alu instid0(VALU_DEP_1) | instskip(SKIP_1) | instid1(VALU_DEP_2)
	v_add_nc_u32_e32 v4, v4, v5
	v_mul_lo_u32 v5, s2, v0
	v_add_nc_u32_e32 v4, v4, v6
	s_delay_alu instid0(VALU_DEP_2) | instskip(NEXT) | instid1(VALU_DEP_2)
	v_mul_hi_u32 v6, v0, v5
	v_mul_lo_u32 v7, v0, v4
	v_mul_hi_u32 v8, v0, v4
	v_mul_hi_u32 v10, v3, v5
	v_mul_lo_u32 v5, v3, v5
	v_mul_hi_u32 v11, v3, v4
	v_mul_lo_u32 v4, v3, v4
	v_add_co_u32 v6, vcc_lo, v6, v7
	v_add_co_ci_u32_e32 v7, vcc_lo, 0, v8, vcc_lo
	s_delay_alu instid0(VALU_DEP_2) | instskip(NEXT) | instid1(VALU_DEP_2)
	v_add_co_u32 v5, vcc_lo, v6, v5
	v_add_co_ci_u32_e32 v5, vcc_lo, v7, v10, vcc_lo
	v_add_co_ci_u32_e32 v6, vcc_lo, 0, v11, vcc_lo
	v_add_co_u32 v7, vcc_lo, v1, v9
	v_add_co_ci_u32_e32 v8, vcc_lo, v2, v9, vcc_lo
	s_delay_alu instid0(VALU_DEP_4) | instskip(NEXT) | instid1(VALU_DEP_4)
	v_add_co_u32 v4, vcc_lo, v5, v4
	v_add_co_ci_u32_e32 v5, vcc_lo, 0, v6, vcc_lo
	s_delay_alu instid0(VALU_DEP_4) | instskip(NEXT) | instid1(VALU_DEP_3)
	v_xor_b32_e32 v10, v7, v9
	v_add_co_u32 v0, vcc_lo, v0, v4
	s_delay_alu instid0(VALU_DEP_3) | instskip(SKIP_1) | instid1(VALU_DEP_3)
	v_add_co_ci_u32_e32 v11, vcc_lo, v3, v5, vcc_lo
	v_xor_b32_e32 v12, v8, v9
	v_mul_hi_u32 v13, v10, v0
	s_delay_alu instid0(VALU_DEP_3) | instskip(NEXT) | instid1(VALU_DEP_3)
	v_mad_u64_u32 v[3:4], null, v10, v11, 0
	v_mad_u64_u32 v[5:6], null, v12, v0, 0
	;; [unrolled: 1-line block ×3, first 2 shown]
	s_delay_alu instid0(VALU_DEP_3) | instskip(NEXT) | instid1(VALU_DEP_4)
	v_add_co_u32 v0, vcc_lo, v13, v3
	v_add_co_ci_u32_e32 v3, vcc_lo, 0, v4, vcc_lo
	s_delay_alu instid0(VALU_DEP_2) | instskip(NEXT) | instid1(VALU_DEP_2)
	v_add_co_u32 v0, vcc_lo, v0, v5
	v_add_co_ci_u32_e32 v0, vcc_lo, v3, v6, vcc_lo
	v_add_co_ci_u32_e32 v3, vcc_lo, 0, v8, vcc_lo
	s_delay_alu instid0(VALU_DEP_2) | instskip(NEXT) | instid1(VALU_DEP_2)
	v_add_co_u32 v0, vcc_lo, v0, v7
	v_add_co_ci_u32_e32 v5, vcc_lo, 0, v3, vcc_lo
	s_delay_alu instid0(VALU_DEP_2) | instskip(SKIP_1) | instid1(VALU_DEP_3)
	v_mul_lo_u32 v6, s11, v0
	v_mad_u64_u32 v[3:4], null, s10, v0, 0
	v_mul_lo_u32 v7, s10, v5
	s_delay_alu instid0(VALU_DEP_2) | instskip(NEXT) | instid1(VALU_DEP_2)
	v_sub_co_u32 v3, vcc_lo, v10, v3
	v_add3_u32 v4, v4, v7, v6
	s_delay_alu instid0(VALU_DEP_1) | instskip(NEXT) | instid1(VALU_DEP_1)
	v_sub_nc_u32_e32 v6, v12, v4
	v_subrev_co_ci_u32_e64 v6, s2, s11, v6, vcc_lo
	v_add_co_u32 v7, s2, v0, 2
	s_delay_alu instid0(VALU_DEP_1) | instskip(SKIP_3) | instid1(VALU_DEP_3)
	v_add_co_ci_u32_e64 v8, s2, 0, v5, s2
	v_sub_co_u32 v10, s2, v3, s10
	v_sub_co_ci_u32_e32 v4, vcc_lo, v12, v4, vcc_lo
	v_subrev_co_ci_u32_e64 v6, s2, 0, v6, s2
	v_cmp_le_u32_e32 vcc_lo, s10, v10
	s_delay_alu instid0(VALU_DEP_3) | instskip(SKIP_1) | instid1(VALU_DEP_4)
	v_cmp_eq_u32_e64 s2, s11, v4
	v_cndmask_b32_e64 v10, 0, -1, vcc_lo
	v_cmp_le_u32_e32 vcc_lo, s11, v6
	v_cndmask_b32_e64 v11, 0, -1, vcc_lo
	v_cmp_le_u32_e32 vcc_lo, s10, v3
	;; [unrolled: 2-line block ×3, first 2 shown]
	v_cndmask_b32_e64 v12, 0, -1, vcc_lo
	v_cmp_eq_u32_e32 vcc_lo, s11, v6
	s_delay_alu instid0(VALU_DEP_2) | instskip(SKIP_3) | instid1(VALU_DEP_3)
	v_cndmask_b32_e64 v3, v12, v3, s2
	v_cndmask_b32_e32 v6, v11, v10, vcc_lo
	v_add_co_u32 v10, vcc_lo, v0, 1
	v_add_co_ci_u32_e32 v11, vcc_lo, 0, v5, vcc_lo
	v_cmp_ne_u32_e32 vcc_lo, 0, v6
	s_delay_alu instid0(VALU_DEP_2) | instskip(NEXT) | instid1(VALU_DEP_4)
	v_cndmask_b32_e32 v4, v11, v8, vcc_lo
	v_cndmask_b32_e32 v6, v10, v7, vcc_lo
	v_cmp_ne_u32_e32 vcc_lo, 0, v3
	v_xor_b32_e32 v7, s4, v9
	s_delay_alu instid0(VALU_DEP_3) | instskip(NEXT) | instid1(VALU_DEP_1)
	v_dual_cndmask_b32 v0, v0, v6 :: v_dual_cndmask_b32 v3, v5, v4
	v_xor_b32_e32 v0, v0, v7
	s_delay_alu instid0(VALU_DEP_2) | instskip(NEXT) | instid1(VALU_DEP_2)
	v_xor_b32_e32 v4, v3, v7
	v_sub_co_u32 v3, vcc_lo, v0, v7
	s_delay_alu instid0(VALU_DEP_2)
	v_sub_co_ci_u32_e32 v4, vcc_lo, v4, v7, vcc_lo
.LBB40_3:
	s_and_not1_saveexec_b32 s2, s13
	s_cbranch_execz .LBB40_5
; %bb.4:
	v_cvt_f32_u32_e32 v0, s8
	s_sub_i32 s4, 0, s8
	s_delay_alu instid0(VALU_DEP_1) | instskip(SKIP_2) | instid1(VALU_DEP_1)
	v_rcp_iflag_f32_e32 v0, v0
	s_waitcnt_depctr 0xfff
	v_mul_f32_e32 v0, 0x4f7ffffe, v0
	v_cvt_u32_f32_e32 v0, v0
	s_delay_alu instid0(VALU_DEP_1) | instskip(NEXT) | instid1(VALU_DEP_1)
	v_mul_lo_u32 v3, s4, v0
	v_mul_hi_u32 v3, v0, v3
	s_delay_alu instid0(VALU_DEP_1) | instskip(NEXT) | instid1(VALU_DEP_1)
	v_add_nc_u32_e32 v0, v0, v3
	v_mul_hi_u32 v0, v1, v0
	s_delay_alu instid0(VALU_DEP_1) | instskip(SKIP_1) | instid1(VALU_DEP_2)
	v_mul_lo_u32 v3, v0, s8
	v_add_nc_u32_e32 v4, 1, v0
	v_sub_nc_u32_e32 v3, v1, v3
	s_delay_alu instid0(VALU_DEP_1) | instskip(SKIP_1) | instid1(VALU_DEP_2)
	v_subrev_nc_u32_e32 v5, s8, v3
	v_cmp_le_u32_e32 vcc_lo, s8, v3
	v_dual_cndmask_b32 v3, v3, v5 :: v_dual_cndmask_b32 v0, v0, v4
	s_delay_alu instid0(VALU_DEP_1) | instskip(NEXT) | instid1(VALU_DEP_2)
	v_cmp_le_u32_e32 vcc_lo, s8, v3
	v_add_nc_u32_e32 v4, 1, v0
	s_delay_alu instid0(VALU_DEP_1)
	v_dual_cndmask_b32 v3, v0, v4 :: v_dual_mov_b32 v4, 0
.LBB40_5:
	s_or_b32 exec_lo, exec_lo, s2
	s_delay_alu instid0(VALU_DEP_1) | instskip(SKIP_1) | instid1(VALU_DEP_1)
	v_or_b32_e32 v6, s7, v4
	v_mov_b32_e32 v5, 0
	v_cmp_ne_u64_e32 vcc_lo, 0, v[5:6]
                                        ; implicit-def: $vgpr5_vgpr6
	s_and_saveexec_b32 s2, vcc_lo
	s_delay_alu instid0(SALU_CYCLE_1)
	s_xor_b32 s10, exec_lo, s2
	s_cbranch_execz .LBB40_7
; %bb.6:
	s_ashr_i32 s4, s7, 31
	s_delay_alu instid0(SALU_CYCLE_1) | instskip(SKIP_2) | instid1(SALU_CYCLE_1)
	s_add_u32 s16, s6, s4
	s_mov_b32 s5, s4
	s_addc_u32 s17, s7, s4
	s_xor_b64 s[4:5], s[16:17], s[4:5]
	s_delay_alu instid0(SALU_CYCLE_1) | instskip(SKIP_3) | instid1(VALU_DEP_1)
	v_cvt_f32_u32_e32 v0, s4
	v_cvt_f32_u32_e32 v5, s5
	s_sub_u32 s2, 0, s4
	s_subb_u32 s7, 0, s5
	v_fmamk_f32 v0, v5, 0x4f800000, v0
	s_delay_alu instid0(VALU_DEP_1) | instskip(SKIP_2) | instid1(VALU_DEP_1)
	v_rcp_f32_e32 v0, v0
	s_waitcnt_depctr 0xfff
	v_mul_f32_e32 v0, 0x5f7ffffc, v0
	v_mul_f32_e32 v5, 0x2f800000, v0
	s_delay_alu instid0(VALU_DEP_1) | instskip(NEXT) | instid1(VALU_DEP_1)
	v_trunc_f32_e32 v5, v5
	v_fmamk_f32 v0, v5, 0xcf800000, v0
	v_cvt_u32_f32_e32 v5, v5
	s_delay_alu instid0(VALU_DEP_2) | instskip(NEXT) | instid1(VALU_DEP_2)
	v_cvt_u32_f32_e32 v0, v0
	v_mul_lo_u32 v6, s2, v5
	s_delay_alu instid0(VALU_DEP_2) | instskip(SKIP_1) | instid1(VALU_DEP_2)
	v_mul_hi_u32 v7, s2, v0
	v_mul_lo_u32 v8, s7, v0
	v_add_nc_u32_e32 v6, v7, v6
	v_mul_lo_u32 v7, s2, v0
	s_delay_alu instid0(VALU_DEP_2) | instskip(NEXT) | instid1(VALU_DEP_2)
	v_add_nc_u32_e32 v6, v6, v8
	v_mul_hi_u32 v8, v0, v7
	s_delay_alu instid0(VALU_DEP_2)
	v_mul_lo_u32 v9, v0, v6
	v_mul_hi_u32 v10, v0, v6
	v_mul_hi_u32 v11, v5, v7
	v_mul_lo_u32 v7, v5, v7
	v_mul_hi_u32 v12, v5, v6
	v_mul_lo_u32 v6, v5, v6
	v_add_co_u32 v8, vcc_lo, v8, v9
	v_add_co_ci_u32_e32 v9, vcc_lo, 0, v10, vcc_lo
	s_delay_alu instid0(VALU_DEP_2) | instskip(NEXT) | instid1(VALU_DEP_2)
	v_add_co_u32 v7, vcc_lo, v8, v7
	v_add_co_ci_u32_e32 v7, vcc_lo, v9, v11, vcc_lo
	v_add_co_ci_u32_e32 v8, vcc_lo, 0, v12, vcc_lo
	v_ashrrev_i32_e32 v11, 31, v4
	s_delay_alu instid0(VALU_DEP_3) | instskip(NEXT) | instid1(VALU_DEP_3)
	v_add_co_u32 v6, vcc_lo, v7, v6
	v_add_co_ci_u32_e32 v7, vcc_lo, 0, v8, vcc_lo
	s_delay_alu instid0(VALU_DEP_2) | instskip(NEXT) | instid1(VALU_DEP_2)
	v_add_co_u32 v0, vcc_lo, v0, v6
	v_add_co_ci_u32_e32 v5, vcc_lo, v5, v7, vcc_lo
	s_delay_alu instid0(VALU_DEP_2) | instskip(SKIP_1) | instid1(VALU_DEP_3)
	v_mul_hi_u32 v6, s2, v0
	v_mul_lo_u32 v8, s7, v0
	v_mul_lo_u32 v7, s2, v5
	s_delay_alu instid0(VALU_DEP_1) | instskip(SKIP_1) | instid1(VALU_DEP_2)
	v_add_nc_u32_e32 v6, v6, v7
	v_mul_lo_u32 v7, s2, v0
	v_add_nc_u32_e32 v6, v6, v8
	s_delay_alu instid0(VALU_DEP_2) | instskip(NEXT) | instid1(VALU_DEP_2)
	v_mul_hi_u32 v8, v0, v7
	v_mul_lo_u32 v9, v0, v6
	v_mul_hi_u32 v10, v0, v6
	v_mul_hi_u32 v12, v5, v7
	v_mul_lo_u32 v7, v5, v7
	v_mul_hi_u32 v13, v5, v6
	v_mul_lo_u32 v6, v5, v6
	v_add_co_u32 v8, vcc_lo, v8, v9
	v_add_co_ci_u32_e32 v9, vcc_lo, 0, v10, vcc_lo
	s_delay_alu instid0(VALU_DEP_2) | instskip(NEXT) | instid1(VALU_DEP_2)
	v_add_co_u32 v7, vcc_lo, v8, v7
	v_add_co_ci_u32_e32 v7, vcc_lo, v9, v12, vcc_lo
	v_add_co_ci_u32_e32 v8, vcc_lo, 0, v13, vcc_lo
	v_add_co_u32 v9, vcc_lo, v3, v11
	v_add_co_ci_u32_e32 v10, vcc_lo, v4, v11, vcc_lo
	s_delay_alu instid0(VALU_DEP_4) | instskip(NEXT) | instid1(VALU_DEP_4)
	v_add_co_u32 v6, vcc_lo, v7, v6
	v_add_co_ci_u32_e32 v7, vcc_lo, 0, v8, vcc_lo
	s_delay_alu instid0(VALU_DEP_4) | instskip(NEXT) | instid1(VALU_DEP_3)
	v_xor_b32_e32 v12, v9, v11
	v_add_co_u32 v0, vcc_lo, v0, v6
	s_delay_alu instid0(VALU_DEP_3) | instskip(SKIP_1) | instid1(VALU_DEP_3)
	v_add_co_ci_u32_e32 v13, vcc_lo, v5, v7, vcc_lo
	v_xor_b32_e32 v14, v10, v11
	v_mul_hi_u32 v15, v12, v0
	s_delay_alu instid0(VALU_DEP_3) | instskip(NEXT) | instid1(VALU_DEP_3)
	v_mad_u64_u32 v[5:6], null, v12, v13, 0
	v_mad_u64_u32 v[7:8], null, v14, v0, 0
	;; [unrolled: 1-line block ×3, first 2 shown]
	s_delay_alu instid0(VALU_DEP_3) | instskip(NEXT) | instid1(VALU_DEP_4)
	v_add_co_u32 v0, vcc_lo, v15, v5
	v_add_co_ci_u32_e32 v5, vcc_lo, 0, v6, vcc_lo
	s_delay_alu instid0(VALU_DEP_2) | instskip(NEXT) | instid1(VALU_DEP_2)
	v_add_co_u32 v0, vcc_lo, v0, v7
	v_add_co_ci_u32_e32 v0, vcc_lo, v5, v8, vcc_lo
	v_add_co_ci_u32_e32 v5, vcc_lo, 0, v10, vcc_lo
	s_delay_alu instid0(VALU_DEP_2) | instskip(NEXT) | instid1(VALU_DEP_2)
	v_add_co_u32 v0, vcc_lo, v0, v9
	v_add_co_ci_u32_e32 v7, vcc_lo, 0, v5, vcc_lo
	s_delay_alu instid0(VALU_DEP_2) | instskip(SKIP_1) | instid1(VALU_DEP_3)
	v_mul_lo_u32 v8, s5, v0
	v_mad_u64_u32 v[5:6], null, s4, v0, 0
	v_mul_lo_u32 v0, s4, v7
	s_delay_alu instid0(VALU_DEP_2) | instskip(NEXT) | instid1(VALU_DEP_2)
	v_sub_co_u32 v5, vcc_lo, v12, v5
	v_add3_u32 v0, v6, v0, v8
	s_delay_alu instid0(VALU_DEP_1) | instskip(NEXT) | instid1(VALU_DEP_1)
	v_sub_nc_u32_e32 v6, v14, v0
	v_subrev_co_ci_u32_e64 v6, s2, s5, v6, vcc_lo
	s_delay_alu instid0(VALU_DEP_4) | instskip(SKIP_1) | instid1(VALU_DEP_3)
	v_sub_co_u32 v7, s2, v5, s4
	v_sub_co_ci_u32_e32 v0, vcc_lo, v14, v0, vcc_lo
	v_subrev_co_ci_u32_e64 v6, s2, 0, v6, s2
	s_delay_alu instid0(VALU_DEP_3) | instskip(SKIP_1) | instid1(VALU_DEP_3)
	v_cmp_le_u32_e32 vcc_lo, s4, v7
	v_cndmask_b32_e64 v8, 0, -1, vcc_lo
	v_cmp_le_u32_e32 vcc_lo, s5, v6
	v_cndmask_b32_e64 v9, 0, -1, vcc_lo
	;; [unrolled: 2-line block ×4, first 2 shown]
	v_cmp_eq_u32_e32 vcc_lo, s5, v6
	v_cndmask_b32_e32 v6, v9, v8, vcc_lo
	v_sub_co_u32 v8, vcc_lo, v7, s4
	v_cmp_eq_u32_e32 vcc_lo, s5, v0
	v_cndmask_b32_e32 v0, v12, v10, vcc_lo
	s_delay_alu instid0(VALU_DEP_4) | instskip(NEXT) | instid1(VALU_DEP_4)
	v_cmp_ne_u32_e32 vcc_lo, 0, v6
	v_cndmask_b32_e32 v6, v7, v8, vcc_lo
	s_delay_alu instid0(VALU_DEP_3) | instskip(NEXT) | instid1(VALU_DEP_2)
	v_cmp_ne_u32_e32 vcc_lo, 0, v0
	v_cndmask_b32_e32 v0, v5, v6, vcc_lo
	s_delay_alu instid0(VALU_DEP_1) | instskip(NEXT) | instid1(VALU_DEP_1)
	v_xor_b32_e32 v0, v0, v11
	v_sub_co_u32 v5, vcc_lo, v0, v11
.LBB40_7:
	s_and_not1_saveexec_b32 s2, s10
	s_cbranch_execz .LBB40_9
; %bb.8:
	v_cvt_f32_u32_e32 v0, s6
	s_sub_i32 s4, 0, s6
	s_delay_alu instid0(VALU_DEP_1) | instskip(SKIP_2) | instid1(VALU_DEP_1)
	v_rcp_iflag_f32_e32 v0, v0
	s_waitcnt_depctr 0xfff
	v_mul_f32_e32 v0, 0x4f7ffffe, v0
	v_cvt_u32_f32_e32 v0, v0
	s_delay_alu instid0(VALU_DEP_1) | instskip(NEXT) | instid1(VALU_DEP_1)
	v_mul_lo_u32 v5, s4, v0
	v_mul_hi_u32 v5, v0, v5
	s_delay_alu instid0(VALU_DEP_1) | instskip(NEXT) | instid1(VALU_DEP_1)
	v_add_nc_u32_e32 v0, v0, v5
	v_mul_hi_u32 v0, v3, v0
	s_delay_alu instid0(VALU_DEP_1) | instskip(NEXT) | instid1(VALU_DEP_1)
	v_mul_lo_u32 v0, v0, s6
	v_sub_nc_u32_e32 v0, v3, v0
	s_delay_alu instid0(VALU_DEP_1) | instskip(SKIP_1) | instid1(VALU_DEP_2)
	v_subrev_nc_u32_e32 v5, s6, v0
	v_cmp_le_u32_e32 vcc_lo, s6, v0
	v_cndmask_b32_e32 v0, v0, v5, vcc_lo
	s_delay_alu instid0(VALU_DEP_1) | instskip(SKIP_1) | instid1(VALU_DEP_2)
	v_subrev_nc_u32_e32 v5, s6, v0
	v_cmp_le_u32_e32 vcc_lo, s6, v0
	v_cndmask_b32_e32 v5, v0, v5, vcc_lo
.LBB40_9:
	s_or_b32 exec_lo, exec_lo, s2
	v_or_b32_e32 v7, s12, v2
	v_mov_b32_e32 v6, 0
	s_delay_alu instid0(VALU_DEP_1) | instskip(SKIP_1) | instid1(SALU_CYCLE_1)
	v_cmp_ne_u64_e32 vcc_lo, 0, v[6:7]
                                        ; implicit-def: $vgpr6_vgpr7
	s_and_saveexec_b32 s2, vcc_lo
	s_xor_b32 s10, exec_lo, s2
	s_cbranch_execz .LBB40_11
; %bb.10:
	s_ashr_i32 s4, s12, 31
	s_delay_alu instid0(SALU_CYCLE_1) | instskip(SKIP_2) | instid1(SALU_CYCLE_1)
	s_add_u32 s6, s3, s4
	s_mov_b32 s5, s4
	s_addc_u32 s7, s12, s4
	s_xor_b64 s[6:7], s[6:7], s[4:5]
	s_delay_alu instid0(SALU_CYCLE_1) | instskip(SKIP_3) | instid1(VALU_DEP_1)
	v_cvt_f32_u32_e32 v0, s6
	v_cvt_f32_u32_e32 v6, s7
	s_sub_u32 s2, 0, s6
	s_subb_u32 s5, 0, s7
	v_fmamk_f32 v0, v6, 0x4f800000, v0
	s_delay_alu instid0(VALU_DEP_1) | instskip(SKIP_2) | instid1(VALU_DEP_1)
	v_rcp_f32_e32 v0, v0
	s_waitcnt_depctr 0xfff
	v_mul_f32_e32 v0, 0x5f7ffffc, v0
	v_mul_f32_e32 v6, 0x2f800000, v0
	s_delay_alu instid0(VALU_DEP_1) | instskip(NEXT) | instid1(VALU_DEP_1)
	v_trunc_f32_e32 v6, v6
	v_fmamk_f32 v0, v6, 0xcf800000, v0
	v_cvt_u32_f32_e32 v6, v6
	s_delay_alu instid0(VALU_DEP_2) | instskip(NEXT) | instid1(VALU_DEP_2)
	v_cvt_u32_f32_e32 v0, v0
	v_mul_lo_u32 v7, s2, v6
	s_delay_alu instid0(VALU_DEP_2) | instskip(SKIP_1) | instid1(VALU_DEP_2)
	v_mul_hi_u32 v8, s2, v0
	v_mul_lo_u32 v9, s5, v0
	v_add_nc_u32_e32 v7, v8, v7
	v_mul_lo_u32 v8, s2, v0
	s_delay_alu instid0(VALU_DEP_2) | instskip(NEXT) | instid1(VALU_DEP_2)
	v_add_nc_u32_e32 v7, v7, v9
	v_mul_hi_u32 v9, v0, v8
	s_delay_alu instid0(VALU_DEP_2)
	v_mul_lo_u32 v10, v0, v7
	v_mul_hi_u32 v11, v0, v7
	v_mul_hi_u32 v12, v6, v8
	v_mul_lo_u32 v8, v6, v8
	v_mul_hi_u32 v13, v6, v7
	v_mul_lo_u32 v7, v6, v7
	v_add_co_u32 v9, vcc_lo, v9, v10
	v_add_co_ci_u32_e32 v10, vcc_lo, 0, v11, vcc_lo
	s_delay_alu instid0(VALU_DEP_2) | instskip(NEXT) | instid1(VALU_DEP_2)
	v_add_co_u32 v8, vcc_lo, v9, v8
	v_add_co_ci_u32_e32 v8, vcc_lo, v10, v12, vcc_lo
	v_add_co_ci_u32_e32 v9, vcc_lo, 0, v13, vcc_lo
	v_mov_b32_e32 v12, v2
	s_delay_alu instid0(VALU_DEP_3) | instskip(NEXT) | instid1(VALU_DEP_3)
	v_add_co_u32 v7, vcc_lo, v8, v7
	v_add_co_ci_u32_e32 v8, vcc_lo, 0, v9, vcc_lo
	v_mov_b32_e32 v13, v2
	s_delay_alu instid0(VALU_DEP_3) | instskip(NEXT) | instid1(VALU_DEP_3)
	v_add_co_u32 v0, vcc_lo, v0, v7
	v_add_co_ci_u32_e32 v6, vcc_lo, v6, v8, vcc_lo
	s_delay_alu instid0(VALU_DEP_2) | instskip(SKIP_1) | instid1(VALU_DEP_3)
	v_mul_hi_u32 v7, s2, v0
	v_mul_lo_u32 v9, s5, v0
	v_mul_lo_u32 v8, s2, v6
	s_delay_alu instid0(VALU_DEP_1) | instskip(SKIP_1) | instid1(VALU_DEP_2)
	v_add_nc_u32_e32 v7, v7, v8
	v_mul_lo_u32 v8, s2, v0
	v_add_nc_u32_e32 v7, v7, v9
	s_delay_alu instid0(VALU_DEP_2) | instskip(NEXT) | instid1(VALU_DEP_2)
	v_mul_hi_u32 v9, v0, v8
	v_mul_lo_u32 v10, v0, v7
	v_mul_hi_u32 v11, v0, v7
	v_mul_hi_u32 v14, v6, v8
	v_mul_lo_u32 v8, v6, v8
	v_mul_hi_u32 v15, v6, v7
	v_mul_lo_u32 v7, v6, v7
	v_add_co_u32 v9, vcc_lo, v9, v10
	v_add_co_ci_u32_e32 v10, vcc_lo, 0, v11, vcc_lo
	s_delay_alu instid0(VALU_DEP_2) | instskip(NEXT) | instid1(VALU_DEP_2)
	v_add_co_u32 v8, vcc_lo, v9, v8
	v_add_co_ci_u32_e32 v8, vcc_lo, v10, v14, vcc_lo
	v_add_co_ci_u32_e32 v9, vcc_lo, 0, v15, vcc_lo
	v_add_co_u32 v10, vcc_lo, v1, v12
	v_add_co_ci_u32_e32 v11, vcc_lo, v2, v13, vcc_lo
	s_delay_alu instid0(VALU_DEP_4) | instskip(NEXT) | instid1(VALU_DEP_4)
	v_add_co_u32 v7, vcc_lo, v8, v7
	v_add_co_ci_u32_e32 v8, vcc_lo, 0, v9, vcc_lo
	s_delay_alu instid0(VALU_DEP_4) | instskip(NEXT) | instid1(VALU_DEP_3)
	v_xor_b32_e32 v14, v10, v12
	v_add_co_u32 v0, vcc_lo, v0, v7
	s_delay_alu instid0(VALU_DEP_3) | instskip(SKIP_1) | instid1(VALU_DEP_3)
	v_add_co_ci_u32_e32 v15, vcc_lo, v6, v8, vcc_lo
	v_xor_b32_e32 v13, v11, v13
	v_mul_hi_u32 v16, v14, v0
	s_delay_alu instid0(VALU_DEP_3) | instskip(NEXT) | instid1(VALU_DEP_3)
	v_mad_u64_u32 v[6:7], null, v14, v15, 0
	v_mad_u64_u32 v[8:9], null, v13, v0, 0
	;; [unrolled: 1-line block ×3, first 2 shown]
	s_delay_alu instid0(VALU_DEP_3) | instskip(NEXT) | instid1(VALU_DEP_4)
	v_add_co_u32 v0, vcc_lo, v16, v6
	v_add_co_ci_u32_e32 v6, vcc_lo, 0, v7, vcc_lo
	s_delay_alu instid0(VALU_DEP_2) | instskip(NEXT) | instid1(VALU_DEP_2)
	v_add_co_u32 v0, vcc_lo, v0, v8
	v_add_co_ci_u32_e32 v0, vcc_lo, v6, v9, vcc_lo
	v_add_co_ci_u32_e32 v6, vcc_lo, 0, v11, vcc_lo
	s_delay_alu instid0(VALU_DEP_2) | instskip(NEXT) | instid1(VALU_DEP_2)
	v_add_co_u32 v0, vcc_lo, v0, v10
	v_add_co_ci_u32_e32 v8, vcc_lo, 0, v6, vcc_lo
	s_delay_alu instid0(VALU_DEP_2) | instskip(SKIP_1) | instid1(VALU_DEP_3)
	v_mul_lo_u32 v9, s7, v0
	v_mad_u64_u32 v[6:7], null, s6, v0, 0
	v_mul_lo_u32 v8, s6, v8
	s_delay_alu instid0(VALU_DEP_2) | instskip(NEXT) | instid1(VALU_DEP_2)
	v_sub_co_u32 v6, vcc_lo, v14, v6
	v_add3_u32 v7, v7, v8, v9
	v_add_co_u32 v9, s2, v0, 2
	s_delay_alu instid0(VALU_DEP_2) | instskip(NEXT) | instid1(VALU_DEP_1)
	v_sub_nc_u32_e32 v8, v13, v7
	v_subrev_co_ci_u32_e64 v8, s2, s7, v8, vcc_lo
	v_sub_co_u32 v10, s2, v6, s6
	v_sub_co_ci_u32_e32 v7, vcc_lo, v13, v7, vcc_lo
	s_delay_alu instid0(VALU_DEP_3) | instskip(NEXT) | instid1(VALU_DEP_3)
	v_subrev_co_ci_u32_e64 v8, s2, 0, v8, s2
	v_cmp_le_u32_e32 vcc_lo, s6, v10
	v_cndmask_b32_e64 v10, 0, -1, vcc_lo
	s_delay_alu instid0(VALU_DEP_3)
	v_cmp_le_u32_e32 vcc_lo, s7, v8
	v_cndmask_b32_e64 v11, 0, -1, vcc_lo
	v_cmp_le_u32_e32 vcc_lo, s6, v6
	v_cndmask_b32_e64 v6, 0, -1, vcc_lo
	;; [unrolled: 2-line block ×3, first 2 shown]
	v_cmp_eq_u32_e32 vcc_lo, s7, v8
	v_cndmask_b32_e32 v8, v11, v10, vcc_lo
	v_add_co_u32 v10, vcc_lo, v0, 1
	v_cmp_eq_u32_e32 vcc_lo, s7, v7
	v_cndmask_b32_e32 v6, v13, v6, vcc_lo
	s_delay_alu instid0(VALU_DEP_4) | instskip(NEXT) | instid1(VALU_DEP_4)
	v_cmp_ne_u32_e32 vcc_lo, 0, v8
	v_cndmask_b32_e32 v7, v10, v9, vcc_lo
	s_delay_alu instid0(VALU_DEP_3) | instskip(SKIP_1) | instid1(VALU_DEP_3)
	v_cmp_ne_u32_e32 vcc_lo, 0, v6
	v_xor_b32_e32 v6, s4, v12
	v_cndmask_b32_e32 v0, v0, v7, vcc_lo
	s_delay_alu instid0(VALU_DEP_1) | instskip(NEXT) | instid1(VALU_DEP_1)
	v_xor_b32_e32 v0, v0, v6
	v_sub_co_u32 v6, vcc_lo, v0, v6
.LBB40_11:
	s_and_not1_saveexec_b32 s2, s10
	s_cbranch_execz .LBB40_13
; %bb.12:
	v_cvt_f32_u32_e32 v0, s3
	s_sub_i32 s4, 0, s3
	s_delay_alu instid0(VALU_DEP_1) | instskip(SKIP_2) | instid1(VALU_DEP_1)
	v_rcp_iflag_f32_e32 v0, v0
	s_waitcnt_depctr 0xfff
	v_mul_f32_e32 v0, 0x4f7ffffe, v0
	v_cvt_u32_f32_e32 v0, v0
	s_delay_alu instid0(VALU_DEP_1) | instskip(NEXT) | instid1(VALU_DEP_1)
	v_mul_lo_u32 v6, s4, v0
	v_mul_hi_u32 v6, v0, v6
	s_delay_alu instid0(VALU_DEP_1) | instskip(NEXT) | instid1(VALU_DEP_1)
	v_add_nc_u32_e32 v0, v0, v6
	v_mul_hi_u32 v0, v1, v0
	s_delay_alu instid0(VALU_DEP_1) | instskip(SKIP_1) | instid1(VALU_DEP_2)
	v_mul_lo_u32 v6, v0, s3
	v_add_nc_u32_e32 v7, 1, v0
	v_sub_nc_u32_e32 v6, v1, v6
	s_delay_alu instid0(VALU_DEP_1) | instskip(SKIP_1) | instid1(VALU_DEP_2)
	v_subrev_nc_u32_e32 v8, s3, v6
	v_cmp_le_u32_e32 vcc_lo, s3, v6
	v_cndmask_b32_e32 v6, v6, v8, vcc_lo
	v_cndmask_b32_e32 v0, v0, v7, vcc_lo
	s_delay_alu instid0(VALU_DEP_2) | instskip(NEXT) | instid1(VALU_DEP_2)
	v_cmp_le_u32_e32 vcc_lo, s3, v6
	v_add_nc_u32_e32 v7, 1, v0
	s_delay_alu instid0(VALU_DEP_1)
	v_cndmask_b32_e32 v6, v0, v7, vcc_lo
.LBB40_13:
	s_or_b32 exec_lo, exec_lo, s2
	s_clause 0x4
	s_load_b32 s10, s[0:1], 0xc0
	s_load_b128 s[4:7], s[0:1], 0xb0
	s_load_b512 s[16:31], s[0:1], 0x18
	s_load_b64 s[2:3], s[0:1], 0x0
	s_load_b64 s[12:13], s[0:1], 0xa8
	v_mul_lo_u32 v0, v4, s8
	v_mad_u64_u32 v[7:8], null, v3, s8, 0
	v_mul_lo_u32 v9, v3, s9
	s_delay_alu instid0(VALU_DEP_2) | instskip(NEXT) | instid1(VALU_DEP_2)
	v_sub_co_u32 v7, vcc_lo, v1, v7
	v_add3_u32 v0, v8, v9, v0
	s_delay_alu instid0(VALU_DEP_1)
	v_sub_co_ci_u32_e32 v9, vcc_lo, v2, v0, vcc_lo
	s_waitcnt lgkmcnt(0)
	s_add_i32 s14, s14, s7
	s_sub_i32 s7, 0, s6
	s_add_i32 s15, s15, s10
	s_max_i32 s10, s6, 0
	s_max_i32 s7, s7, 0
	s_sub_i32 s8, 0, s5
	s_sub_i32 s7, s7, s10
	s_add_i32 s10, s4, s16
	s_ashr_i32 s16, s15, 31
	s_add_i32 s10, s10, -1
	s_sub_i32 s9, 0, s4
	s_max_i32 s17, s4, 0
	v_maxmin_i32 v3, s4, v6, s10
	s_mul_i32 s4, s22, s16
	s_mul_hi_u32 s10, s22, s15
	s_max_i32 s11, s5, 0
	s_max_i32 s8, s8, 0
	s_add_i32 s19, s6, s20
	s_add_i32 s18, s5, s18
	s_max_i32 s9, s9, 0
	s_add_i32 s4, s10, s4
	s_mul_i32 s10, s23, s15
	s_sub_i32 s8, s8, s11
	s_mul_i32 s11, s22, s15
	s_add_i32 s19, s19, -1
	s_add_i32 s18, s18, -1
	s_sub_i32 s9, s9, s17
	s_add_i32 s4, s4, s10
	s_add_u32 s2, s2, s11
	s_addc_u32 s3, s3, s4
	s_ashr_i32 s17, s14, 31
	v_add_nc_u32_e32 v10, s9, v3
	s_mul_i32 s4, s24, s17
	s_mul_hi_u32 s9, s24, s14
	v_maxmin_i32 v11, s5, v5, s18
	s_add_i32 s4, s9, s4
	s_mul_i32 s5, s25, s14
	v_ashrrev_i32_e32 v3, 31, v10
	s_mul_i32 s9, s24, s14
	s_add_i32 s4, s4, s5
	s_add_u32 s2, s2, s9
	s_addc_u32 s3, s3, s4
	v_mul_lo_u32 v12, s26, v3
	v_mad_u64_u32 v[3:4], null, s26, v10, s[2:3]
	v_mul_lo_u32 v10, s27, v10
	v_add_nc_u32_e32 v11, s8, v11
	v_maxmin_i32 v2, s6, v7, s19
	s_delay_alu instid0(VALU_DEP_2) | instskip(NEXT) | instid1(VALU_DEP_4)
	v_ashrrev_i32_e32 v8, 31, v11
	v_add3_u32 v4, v10, v4, v12
	s_delay_alu instid0(VALU_DEP_1) | instskip(NEXT) | instid1(VALU_DEP_3)
	v_mad_u64_u32 v[0:1], null, s28, v11, v[3:4]
	v_mul_lo_u32 v3, s28, v8
	v_mul_lo_u32 v4, s29, v11
	v_add_nc_u32_e32 v8, s7, v2
	s_delay_alu instid0(VALU_DEP_2) | instskip(NEXT) | instid1(VALU_DEP_2)
	v_add3_u32 v1, v4, v1, v3
	v_ashrrev_i32_e32 v4, 31, v8
	s_delay_alu instid0(VALU_DEP_2) | instskip(NEXT) | instid1(VALU_DEP_2)
	v_mad_u64_u32 v[2:3], null, s30, v8, v[0:1]
	v_mul_lo_u32 v0, s30, v4
	v_mul_lo_u32 v1, s31, v8
	s_delay_alu instid0(VALU_DEP_1)
	v_add3_u32 v3, v1, v3, v0
	global_load_u8 v4, v[2:3], off
	s_clause 0x1
	s_load_b256 s[4:11], s[0:1], 0x88
	s_load_b64 s[0:1], s[0:1], 0x58
	v_ashrrev_i32_e32 v2, 31, v6
	s_waitcnt lgkmcnt(0)
	s_mul_i32 s2, s4, s16
	s_mul_hi_u32 s3, s4, s15
	s_mul_i32 s4, s4, s15
	s_add_i32 s2, s3, s2
	s_mul_i32 s3, s5, s15
	v_mul_lo_u32 v3, s9, v6
	s_add_i32 s2, s2, s3
	s_add_u32 s0, s0, s4
	s_mul_i32 s3, s6, s17
	s_mul_hi_u32 s4, s6, s14
	s_addc_u32 s1, s1, s2
	s_add_i32 s2, s4, s3
	s_mul_i32 s3, s7, s14
	s_mul_i32 s4, s6, s14
	s_add_i32 s2, s2, s3
	s_add_u32 s0, s0, s4
	s_addc_u32 s1, s1, s2
	v_mul_lo_u32 v2, s8, v2
	v_mad_u64_u32 v[0:1], null, s8, v6, s[0:1]
	v_ashrrev_i32_e32 v6, 31, v5
	s_delay_alu instid0(VALU_DEP_2) | instskip(NEXT) | instid1(VALU_DEP_1)
	v_add3_u32 v1, v3, v1, v2
	v_mad_u64_u32 v[2:3], null, s10, v5, v[0:1]
	v_mul_lo_u32 v0, s11, v5
	s_delay_alu instid0(VALU_DEP_4) | instskip(NEXT) | instid1(VALU_DEP_1)
	v_mul_lo_u32 v1, s10, v6
	v_add3_u32 v3, v0, v3, v1
	s_delay_alu instid0(VALU_DEP_1) | instskip(SKIP_2) | instid1(VALU_DEP_1)
	v_mad_u64_u32 v[0:1], null, s12, v7, v[2:3]
	v_mul_lo_u32 v2, s12, v9
	v_mul_lo_u32 v3, s13, v7
	v_add3_u32 v1, v3, v1, v2
	s_waitcnt vmcnt(0)
	global_store_b8 v[0:1], v4, off
.LBB40_14:
	s_nop 0
	s_sendmsg sendmsg(MSG_DEALLOC_VGPRS)
	s_endpgm
	.section	.rodata,"a",@progbits
	.p2align	6, 0x0
	.amdhsa_kernel _ZN2at6native12_GLOBAL__N_132replication_pad_forward_kernel3dIhEEvN5torch10headeronly6detail27GenericPackedTensorAccessorINS5_14TensorAccessorIN3c108ArrayRefIlEEKT_Lm4ENS4_16DefaultPtrTraitsElEENS_6detail16IndexBoundsCheckILm5ElEESC_Lm5ESD_lEENS6_INS7_ISA_SB_Lm4ESD_lEESH_SB_Lm5ESD_lEEiiiii
		.amdhsa_group_segment_fixed_size 0
		.amdhsa_private_segment_fixed_size 0
		.amdhsa_kernarg_size 456
		.amdhsa_user_sgpr_count 13
		.amdhsa_user_sgpr_dispatch_ptr 0
		.amdhsa_user_sgpr_queue_ptr 0
		.amdhsa_user_sgpr_kernarg_segment_ptr 1
		.amdhsa_user_sgpr_dispatch_id 0
		.amdhsa_user_sgpr_private_segment_size 0
		.amdhsa_wavefront_size32 1
		.amdhsa_uses_dynamic_stack 0
		.amdhsa_enable_private_segment 0
		.amdhsa_system_sgpr_workgroup_id_x 1
		.amdhsa_system_sgpr_workgroup_id_y 1
		.amdhsa_system_sgpr_workgroup_id_z 1
		.amdhsa_system_sgpr_workgroup_info 0
		.amdhsa_system_vgpr_workitem_id 0
		.amdhsa_next_free_vgpr 17
		.amdhsa_next_free_sgpr 32
		.amdhsa_reserve_vcc 1
		.amdhsa_float_round_mode_32 0
		.amdhsa_float_round_mode_16_64 0
		.amdhsa_float_denorm_mode_32 3
		.amdhsa_float_denorm_mode_16_64 3
		.amdhsa_dx10_clamp 1
		.amdhsa_ieee_mode 1
		.amdhsa_fp16_overflow 0
		.amdhsa_workgroup_processor_mode 1
		.amdhsa_memory_ordered 1
		.amdhsa_forward_progress 0
		.amdhsa_shared_vgpr_count 0
		.amdhsa_exception_fp_ieee_invalid_op 0
		.amdhsa_exception_fp_denorm_src 0
		.amdhsa_exception_fp_ieee_div_zero 0
		.amdhsa_exception_fp_ieee_overflow 0
		.amdhsa_exception_fp_ieee_underflow 0
		.amdhsa_exception_fp_ieee_inexact 0
		.amdhsa_exception_int_div_zero 0
	.end_amdhsa_kernel
	.section	.text._ZN2at6native12_GLOBAL__N_132replication_pad_forward_kernel3dIhEEvN5torch10headeronly6detail27GenericPackedTensorAccessorINS5_14TensorAccessorIN3c108ArrayRefIlEEKT_Lm4ENS4_16DefaultPtrTraitsElEENS_6detail16IndexBoundsCheckILm5ElEESC_Lm5ESD_lEENS6_INS7_ISA_SB_Lm4ESD_lEESH_SB_Lm5ESD_lEEiiiii,"axG",@progbits,_ZN2at6native12_GLOBAL__N_132replication_pad_forward_kernel3dIhEEvN5torch10headeronly6detail27GenericPackedTensorAccessorINS5_14TensorAccessorIN3c108ArrayRefIlEEKT_Lm4ENS4_16DefaultPtrTraitsElEENS_6detail16IndexBoundsCheckILm5ElEESC_Lm5ESD_lEENS6_INS7_ISA_SB_Lm4ESD_lEESH_SB_Lm5ESD_lEEiiiii,comdat
.Lfunc_end40:
	.size	_ZN2at6native12_GLOBAL__N_132replication_pad_forward_kernel3dIhEEvN5torch10headeronly6detail27GenericPackedTensorAccessorINS5_14TensorAccessorIN3c108ArrayRefIlEEKT_Lm4ENS4_16DefaultPtrTraitsElEENS_6detail16IndexBoundsCheckILm5ElEESC_Lm5ESD_lEENS6_INS7_ISA_SB_Lm4ESD_lEESH_SB_Lm5ESD_lEEiiiii, .Lfunc_end40-_ZN2at6native12_GLOBAL__N_132replication_pad_forward_kernel3dIhEEvN5torch10headeronly6detail27GenericPackedTensorAccessorINS5_14TensorAccessorIN3c108ArrayRefIlEEKT_Lm4ENS4_16DefaultPtrTraitsElEENS_6detail16IndexBoundsCheckILm5ElEESC_Lm5ESD_lEENS6_INS7_ISA_SB_Lm4ESD_lEESH_SB_Lm5ESD_lEEiiiii
                                        ; -- End function
	.section	.AMDGPU.csdata,"",@progbits
; Kernel info:
; codeLenInByte = 3660
; NumSgprs: 34
; NumVgprs: 17
; ScratchSize: 0
; MemoryBound: 0
; FloatMode: 240
; IeeeMode: 1
; LDSByteSize: 0 bytes/workgroup (compile time only)
; SGPRBlocks: 4
; VGPRBlocks: 2
; NumSGPRsForWavesPerEU: 34
; NumVGPRsForWavesPerEU: 17
; Occupancy: 16
; WaveLimiterHint : 1
; COMPUTE_PGM_RSRC2:SCRATCH_EN: 0
; COMPUTE_PGM_RSRC2:USER_SGPR: 13
; COMPUTE_PGM_RSRC2:TRAP_HANDLER: 0
; COMPUTE_PGM_RSRC2:TGID_X_EN: 1
; COMPUTE_PGM_RSRC2:TGID_Y_EN: 1
; COMPUTE_PGM_RSRC2:TGID_Z_EN: 1
; COMPUTE_PGM_RSRC2:TIDIG_COMP_CNT: 0
	.section	.text._ZN2at6native12_GLOBAL__N_132replication_pad_forward_kernel3dIaEEvN5torch10headeronly6detail27GenericPackedTensorAccessorINS5_14TensorAccessorIN3c108ArrayRefIlEEKT_Lm4ENS4_16DefaultPtrTraitsElEENS_6detail16IndexBoundsCheckILm5ElEESC_Lm5ESD_lEENS6_INS7_ISA_SB_Lm4ESD_lEESH_SB_Lm5ESD_lEEiiiii,"axG",@progbits,_ZN2at6native12_GLOBAL__N_132replication_pad_forward_kernel3dIaEEvN5torch10headeronly6detail27GenericPackedTensorAccessorINS5_14TensorAccessorIN3c108ArrayRefIlEEKT_Lm4ENS4_16DefaultPtrTraitsElEENS_6detail16IndexBoundsCheckILm5ElEESC_Lm5ESD_lEENS6_INS7_ISA_SB_Lm4ESD_lEESH_SB_Lm5ESD_lEEiiiii,comdat
	.globl	_ZN2at6native12_GLOBAL__N_132replication_pad_forward_kernel3dIaEEvN5torch10headeronly6detail27GenericPackedTensorAccessorINS5_14TensorAccessorIN3c108ArrayRefIlEEKT_Lm4ENS4_16DefaultPtrTraitsElEENS_6detail16IndexBoundsCheckILm5ElEESC_Lm5ESD_lEENS6_INS7_ISA_SB_Lm4ESD_lEESH_SB_Lm5ESD_lEEiiiii ; -- Begin function _ZN2at6native12_GLOBAL__N_132replication_pad_forward_kernel3dIaEEvN5torch10headeronly6detail27GenericPackedTensorAccessorINS5_14TensorAccessorIN3c108ArrayRefIlEEKT_Lm4ENS4_16DefaultPtrTraitsElEENS_6detail16IndexBoundsCheckILm5ElEESC_Lm5ESD_lEENS6_INS7_ISA_SB_Lm4ESD_lEESH_SB_Lm5ESD_lEEiiiii
	.p2align	8
	.type	_ZN2at6native12_GLOBAL__N_132replication_pad_forward_kernel3dIaEEvN5torch10headeronly6detail27GenericPackedTensorAccessorINS5_14TensorAccessorIN3c108ArrayRefIlEEKT_Lm4ENS4_16DefaultPtrTraitsElEENS_6detail16IndexBoundsCheckILm5ElEESC_Lm5ESD_lEENS6_INS7_ISA_SB_Lm4ESD_lEESH_SB_Lm5ESD_lEEiiiii,@function
_ZN2at6native12_GLOBAL__N_132replication_pad_forward_kernel3dIaEEvN5torch10headeronly6detail27GenericPackedTensorAccessorINS5_14TensorAccessorIN3c108ArrayRefIlEEKT_Lm4ENS4_16DefaultPtrTraitsElEENS_6detail16IndexBoundsCheckILm5ElEESC_Lm5ESD_lEENS6_INS7_ISA_SB_Lm4ESD_lEESH_SB_Lm5ESD_lEEiiiii: ; @_ZN2at6native12_GLOBAL__N_132replication_pad_forward_kernel3dIaEEvN5torch10headeronly6detail27GenericPackedTensorAccessorINS5_14TensorAccessorIN3c108ArrayRefIlEEKT_Lm4ENS4_16DefaultPtrTraitsElEENS_6detail16IndexBoundsCheckILm5ElEESC_Lm5ESD_lEENS6_INS7_ISA_SB_Lm4ESD_lEESH_SB_Lm5ESD_lEEiiiii
; %bb.0:
	s_clause 0x2
	s_load_b32 s2, s[0:1], 0xd4
	s_load_b128 s[4:7], s[0:1], 0x70
	s_load_b64 s[8:9], s[0:1], 0x80
	s_waitcnt lgkmcnt(0)
	s_and_b32 s2, s2, 0xffff
	s_delay_alu instid0(SALU_CYCLE_1)
	v_mad_u64_u32 v[1:2], null, s13, s2, v[0:1]
	s_mul_i32 s10, s8, s7
	s_mul_hi_u32 s11, s8, s6
	s_mul_i32 s2, s9, s6
	s_mul_i32 s3, s8, s6
	s_add_i32 s12, s11, s10
	s_mul_i32 s5, s3, s5
	s_mul_hi_u32 s10, s3, s4
	s_add_i32 s12, s12, s2
	v_ashrrev_i32_e32 v2, 31, v1
	s_add_i32 s2, s10, s5
	s_mul_i32 s5, s12, s4
	s_mul_i32 s4, s3, s4
	s_add_i32 s5, s2, s5
	s_mov_b32 s2, exec_lo
	v_cmpx_gt_i64_e64 s[4:5], v[1:2]
	s_cbranch_execz .LBB41_14
; %bb.1:
	v_or_b32_e32 v4, s9, v2
	v_mov_b32_e32 v3, 0
	s_delay_alu instid0(VALU_DEP_1) | instskip(SKIP_1) | instid1(SALU_CYCLE_1)
	v_cmp_ne_u64_e32 vcc_lo, 0, v[3:4]
                                        ; implicit-def: $vgpr3_vgpr4
	s_and_saveexec_b32 s2, vcc_lo
	s_xor_b32 s13, exec_lo, s2
	s_cbranch_execz .LBB41_3
; %bb.2:
	s_ashr_i32 s4, s9, 31
	s_delay_alu instid0(SALU_CYCLE_1) | instskip(SKIP_2) | instid1(SALU_CYCLE_1)
	s_add_u32 s10, s8, s4
	s_mov_b32 s5, s4
	s_addc_u32 s11, s9, s4
	s_xor_b64 s[10:11], s[10:11], s[4:5]
	s_delay_alu instid0(SALU_CYCLE_1) | instskip(SKIP_3) | instid1(VALU_DEP_1)
	v_cvt_f32_u32_e32 v0, s10
	v_cvt_f32_u32_e32 v3, s11
	s_sub_u32 s2, 0, s10
	s_subb_u32 s5, 0, s11
	v_fmamk_f32 v0, v3, 0x4f800000, v0
	s_delay_alu instid0(VALU_DEP_1) | instskip(SKIP_2) | instid1(VALU_DEP_1)
	v_rcp_f32_e32 v0, v0
	s_waitcnt_depctr 0xfff
	v_mul_f32_e32 v0, 0x5f7ffffc, v0
	v_mul_f32_e32 v3, 0x2f800000, v0
	s_delay_alu instid0(VALU_DEP_1) | instskip(NEXT) | instid1(VALU_DEP_1)
	v_trunc_f32_e32 v3, v3
	v_fmamk_f32 v0, v3, 0xcf800000, v0
	v_cvt_u32_f32_e32 v3, v3
	s_delay_alu instid0(VALU_DEP_2) | instskip(NEXT) | instid1(VALU_DEP_2)
	v_cvt_u32_f32_e32 v0, v0
	v_mul_lo_u32 v4, s2, v3
	s_delay_alu instid0(VALU_DEP_2) | instskip(SKIP_1) | instid1(VALU_DEP_2)
	v_mul_hi_u32 v5, s2, v0
	v_mul_lo_u32 v6, s5, v0
	v_add_nc_u32_e32 v4, v5, v4
	v_mul_lo_u32 v5, s2, v0
	s_delay_alu instid0(VALU_DEP_2) | instskip(NEXT) | instid1(VALU_DEP_2)
	v_add_nc_u32_e32 v4, v4, v6
	v_mul_hi_u32 v6, v0, v5
	s_delay_alu instid0(VALU_DEP_2)
	v_mul_lo_u32 v7, v0, v4
	v_mul_hi_u32 v8, v0, v4
	v_mul_hi_u32 v9, v3, v5
	v_mul_lo_u32 v5, v3, v5
	v_mul_hi_u32 v10, v3, v4
	v_mul_lo_u32 v4, v3, v4
	v_add_co_u32 v6, vcc_lo, v6, v7
	v_add_co_ci_u32_e32 v7, vcc_lo, 0, v8, vcc_lo
	s_delay_alu instid0(VALU_DEP_2) | instskip(NEXT) | instid1(VALU_DEP_2)
	v_add_co_u32 v5, vcc_lo, v6, v5
	v_add_co_ci_u32_e32 v5, vcc_lo, v7, v9, vcc_lo
	v_add_co_ci_u32_e32 v6, vcc_lo, 0, v10, vcc_lo
	v_ashrrev_i32_e32 v9, 31, v2
	s_delay_alu instid0(VALU_DEP_3) | instskip(NEXT) | instid1(VALU_DEP_3)
	v_add_co_u32 v4, vcc_lo, v5, v4
	v_add_co_ci_u32_e32 v5, vcc_lo, 0, v6, vcc_lo
	s_delay_alu instid0(VALU_DEP_2) | instskip(NEXT) | instid1(VALU_DEP_2)
	v_add_co_u32 v0, vcc_lo, v0, v4
	v_add_co_ci_u32_e32 v3, vcc_lo, v3, v5, vcc_lo
	s_delay_alu instid0(VALU_DEP_2) | instskip(SKIP_1) | instid1(VALU_DEP_3)
	v_mul_hi_u32 v4, s2, v0
	v_mul_lo_u32 v6, s5, v0
	v_mul_lo_u32 v5, s2, v3
	s_delay_alu instid0(VALU_DEP_1) | instskip(SKIP_1) | instid1(VALU_DEP_2)
	v_add_nc_u32_e32 v4, v4, v5
	v_mul_lo_u32 v5, s2, v0
	v_add_nc_u32_e32 v4, v4, v6
	s_delay_alu instid0(VALU_DEP_2) | instskip(NEXT) | instid1(VALU_DEP_2)
	v_mul_hi_u32 v6, v0, v5
	v_mul_lo_u32 v7, v0, v4
	v_mul_hi_u32 v8, v0, v4
	v_mul_hi_u32 v10, v3, v5
	v_mul_lo_u32 v5, v3, v5
	v_mul_hi_u32 v11, v3, v4
	v_mul_lo_u32 v4, v3, v4
	v_add_co_u32 v6, vcc_lo, v6, v7
	v_add_co_ci_u32_e32 v7, vcc_lo, 0, v8, vcc_lo
	s_delay_alu instid0(VALU_DEP_2) | instskip(NEXT) | instid1(VALU_DEP_2)
	v_add_co_u32 v5, vcc_lo, v6, v5
	v_add_co_ci_u32_e32 v5, vcc_lo, v7, v10, vcc_lo
	v_add_co_ci_u32_e32 v6, vcc_lo, 0, v11, vcc_lo
	v_add_co_u32 v7, vcc_lo, v1, v9
	v_add_co_ci_u32_e32 v8, vcc_lo, v2, v9, vcc_lo
	s_delay_alu instid0(VALU_DEP_4) | instskip(NEXT) | instid1(VALU_DEP_4)
	v_add_co_u32 v4, vcc_lo, v5, v4
	v_add_co_ci_u32_e32 v5, vcc_lo, 0, v6, vcc_lo
	s_delay_alu instid0(VALU_DEP_4) | instskip(NEXT) | instid1(VALU_DEP_3)
	v_xor_b32_e32 v10, v7, v9
	v_add_co_u32 v0, vcc_lo, v0, v4
	s_delay_alu instid0(VALU_DEP_3) | instskip(SKIP_1) | instid1(VALU_DEP_3)
	v_add_co_ci_u32_e32 v11, vcc_lo, v3, v5, vcc_lo
	v_xor_b32_e32 v12, v8, v9
	v_mul_hi_u32 v13, v10, v0
	s_delay_alu instid0(VALU_DEP_3) | instskip(NEXT) | instid1(VALU_DEP_3)
	v_mad_u64_u32 v[3:4], null, v10, v11, 0
	v_mad_u64_u32 v[5:6], null, v12, v0, 0
	;; [unrolled: 1-line block ×3, first 2 shown]
	s_delay_alu instid0(VALU_DEP_3) | instskip(NEXT) | instid1(VALU_DEP_4)
	v_add_co_u32 v0, vcc_lo, v13, v3
	v_add_co_ci_u32_e32 v3, vcc_lo, 0, v4, vcc_lo
	s_delay_alu instid0(VALU_DEP_2) | instskip(NEXT) | instid1(VALU_DEP_2)
	v_add_co_u32 v0, vcc_lo, v0, v5
	v_add_co_ci_u32_e32 v0, vcc_lo, v3, v6, vcc_lo
	v_add_co_ci_u32_e32 v3, vcc_lo, 0, v8, vcc_lo
	s_delay_alu instid0(VALU_DEP_2) | instskip(NEXT) | instid1(VALU_DEP_2)
	v_add_co_u32 v0, vcc_lo, v0, v7
	v_add_co_ci_u32_e32 v5, vcc_lo, 0, v3, vcc_lo
	s_delay_alu instid0(VALU_DEP_2) | instskip(SKIP_1) | instid1(VALU_DEP_3)
	v_mul_lo_u32 v6, s11, v0
	v_mad_u64_u32 v[3:4], null, s10, v0, 0
	v_mul_lo_u32 v7, s10, v5
	s_delay_alu instid0(VALU_DEP_2) | instskip(NEXT) | instid1(VALU_DEP_2)
	v_sub_co_u32 v3, vcc_lo, v10, v3
	v_add3_u32 v4, v4, v7, v6
	s_delay_alu instid0(VALU_DEP_1) | instskip(NEXT) | instid1(VALU_DEP_1)
	v_sub_nc_u32_e32 v6, v12, v4
	v_subrev_co_ci_u32_e64 v6, s2, s11, v6, vcc_lo
	v_add_co_u32 v7, s2, v0, 2
	s_delay_alu instid0(VALU_DEP_1) | instskip(SKIP_3) | instid1(VALU_DEP_3)
	v_add_co_ci_u32_e64 v8, s2, 0, v5, s2
	v_sub_co_u32 v10, s2, v3, s10
	v_sub_co_ci_u32_e32 v4, vcc_lo, v12, v4, vcc_lo
	v_subrev_co_ci_u32_e64 v6, s2, 0, v6, s2
	v_cmp_le_u32_e32 vcc_lo, s10, v10
	s_delay_alu instid0(VALU_DEP_3) | instskip(SKIP_1) | instid1(VALU_DEP_4)
	v_cmp_eq_u32_e64 s2, s11, v4
	v_cndmask_b32_e64 v10, 0, -1, vcc_lo
	v_cmp_le_u32_e32 vcc_lo, s11, v6
	v_cndmask_b32_e64 v11, 0, -1, vcc_lo
	v_cmp_le_u32_e32 vcc_lo, s10, v3
	;; [unrolled: 2-line block ×3, first 2 shown]
	v_cndmask_b32_e64 v12, 0, -1, vcc_lo
	v_cmp_eq_u32_e32 vcc_lo, s11, v6
	s_delay_alu instid0(VALU_DEP_2) | instskip(SKIP_3) | instid1(VALU_DEP_3)
	v_cndmask_b32_e64 v3, v12, v3, s2
	v_cndmask_b32_e32 v6, v11, v10, vcc_lo
	v_add_co_u32 v10, vcc_lo, v0, 1
	v_add_co_ci_u32_e32 v11, vcc_lo, 0, v5, vcc_lo
	v_cmp_ne_u32_e32 vcc_lo, 0, v6
	s_delay_alu instid0(VALU_DEP_2) | instskip(NEXT) | instid1(VALU_DEP_4)
	v_cndmask_b32_e32 v4, v11, v8, vcc_lo
	v_cndmask_b32_e32 v6, v10, v7, vcc_lo
	v_cmp_ne_u32_e32 vcc_lo, 0, v3
	v_xor_b32_e32 v7, s4, v9
	s_delay_alu instid0(VALU_DEP_3) | instskip(NEXT) | instid1(VALU_DEP_1)
	v_dual_cndmask_b32 v0, v0, v6 :: v_dual_cndmask_b32 v3, v5, v4
	v_xor_b32_e32 v0, v0, v7
	s_delay_alu instid0(VALU_DEP_2) | instskip(NEXT) | instid1(VALU_DEP_2)
	v_xor_b32_e32 v4, v3, v7
	v_sub_co_u32 v3, vcc_lo, v0, v7
	s_delay_alu instid0(VALU_DEP_2)
	v_sub_co_ci_u32_e32 v4, vcc_lo, v4, v7, vcc_lo
.LBB41_3:
	s_and_not1_saveexec_b32 s2, s13
	s_cbranch_execz .LBB41_5
; %bb.4:
	v_cvt_f32_u32_e32 v0, s8
	s_sub_i32 s4, 0, s8
	s_delay_alu instid0(VALU_DEP_1) | instskip(SKIP_2) | instid1(VALU_DEP_1)
	v_rcp_iflag_f32_e32 v0, v0
	s_waitcnt_depctr 0xfff
	v_mul_f32_e32 v0, 0x4f7ffffe, v0
	v_cvt_u32_f32_e32 v0, v0
	s_delay_alu instid0(VALU_DEP_1) | instskip(NEXT) | instid1(VALU_DEP_1)
	v_mul_lo_u32 v3, s4, v0
	v_mul_hi_u32 v3, v0, v3
	s_delay_alu instid0(VALU_DEP_1) | instskip(NEXT) | instid1(VALU_DEP_1)
	v_add_nc_u32_e32 v0, v0, v3
	v_mul_hi_u32 v0, v1, v0
	s_delay_alu instid0(VALU_DEP_1) | instskip(SKIP_1) | instid1(VALU_DEP_2)
	v_mul_lo_u32 v3, v0, s8
	v_add_nc_u32_e32 v4, 1, v0
	v_sub_nc_u32_e32 v3, v1, v3
	s_delay_alu instid0(VALU_DEP_1) | instskip(SKIP_1) | instid1(VALU_DEP_2)
	v_subrev_nc_u32_e32 v5, s8, v3
	v_cmp_le_u32_e32 vcc_lo, s8, v3
	v_dual_cndmask_b32 v3, v3, v5 :: v_dual_cndmask_b32 v0, v0, v4
	s_delay_alu instid0(VALU_DEP_1) | instskip(NEXT) | instid1(VALU_DEP_2)
	v_cmp_le_u32_e32 vcc_lo, s8, v3
	v_add_nc_u32_e32 v4, 1, v0
	s_delay_alu instid0(VALU_DEP_1)
	v_dual_cndmask_b32 v3, v0, v4 :: v_dual_mov_b32 v4, 0
.LBB41_5:
	s_or_b32 exec_lo, exec_lo, s2
	s_delay_alu instid0(VALU_DEP_1) | instskip(SKIP_1) | instid1(VALU_DEP_1)
	v_or_b32_e32 v6, s7, v4
	v_mov_b32_e32 v5, 0
	v_cmp_ne_u64_e32 vcc_lo, 0, v[5:6]
                                        ; implicit-def: $vgpr5_vgpr6
	s_and_saveexec_b32 s2, vcc_lo
	s_delay_alu instid0(SALU_CYCLE_1)
	s_xor_b32 s10, exec_lo, s2
	s_cbranch_execz .LBB41_7
; %bb.6:
	s_ashr_i32 s4, s7, 31
	s_delay_alu instid0(SALU_CYCLE_1) | instskip(SKIP_2) | instid1(SALU_CYCLE_1)
	s_add_u32 s16, s6, s4
	s_mov_b32 s5, s4
	s_addc_u32 s17, s7, s4
	s_xor_b64 s[4:5], s[16:17], s[4:5]
	s_delay_alu instid0(SALU_CYCLE_1) | instskip(SKIP_3) | instid1(VALU_DEP_1)
	v_cvt_f32_u32_e32 v0, s4
	v_cvt_f32_u32_e32 v5, s5
	s_sub_u32 s2, 0, s4
	s_subb_u32 s7, 0, s5
	v_fmamk_f32 v0, v5, 0x4f800000, v0
	s_delay_alu instid0(VALU_DEP_1) | instskip(SKIP_2) | instid1(VALU_DEP_1)
	v_rcp_f32_e32 v0, v0
	s_waitcnt_depctr 0xfff
	v_mul_f32_e32 v0, 0x5f7ffffc, v0
	v_mul_f32_e32 v5, 0x2f800000, v0
	s_delay_alu instid0(VALU_DEP_1) | instskip(NEXT) | instid1(VALU_DEP_1)
	v_trunc_f32_e32 v5, v5
	v_fmamk_f32 v0, v5, 0xcf800000, v0
	v_cvt_u32_f32_e32 v5, v5
	s_delay_alu instid0(VALU_DEP_2) | instskip(NEXT) | instid1(VALU_DEP_2)
	v_cvt_u32_f32_e32 v0, v0
	v_mul_lo_u32 v6, s2, v5
	s_delay_alu instid0(VALU_DEP_2) | instskip(SKIP_1) | instid1(VALU_DEP_2)
	v_mul_hi_u32 v7, s2, v0
	v_mul_lo_u32 v8, s7, v0
	v_add_nc_u32_e32 v6, v7, v6
	v_mul_lo_u32 v7, s2, v0
	s_delay_alu instid0(VALU_DEP_2) | instskip(NEXT) | instid1(VALU_DEP_2)
	v_add_nc_u32_e32 v6, v6, v8
	v_mul_hi_u32 v8, v0, v7
	s_delay_alu instid0(VALU_DEP_2)
	v_mul_lo_u32 v9, v0, v6
	v_mul_hi_u32 v10, v0, v6
	v_mul_hi_u32 v11, v5, v7
	v_mul_lo_u32 v7, v5, v7
	v_mul_hi_u32 v12, v5, v6
	v_mul_lo_u32 v6, v5, v6
	v_add_co_u32 v8, vcc_lo, v8, v9
	v_add_co_ci_u32_e32 v9, vcc_lo, 0, v10, vcc_lo
	s_delay_alu instid0(VALU_DEP_2) | instskip(NEXT) | instid1(VALU_DEP_2)
	v_add_co_u32 v7, vcc_lo, v8, v7
	v_add_co_ci_u32_e32 v7, vcc_lo, v9, v11, vcc_lo
	v_add_co_ci_u32_e32 v8, vcc_lo, 0, v12, vcc_lo
	v_ashrrev_i32_e32 v11, 31, v4
	s_delay_alu instid0(VALU_DEP_3) | instskip(NEXT) | instid1(VALU_DEP_3)
	v_add_co_u32 v6, vcc_lo, v7, v6
	v_add_co_ci_u32_e32 v7, vcc_lo, 0, v8, vcc_lo
	s_delay_alu instid0(VALU_DEP_2) | instskip(NEXT) | instid1(VALU_DEP_2)
	v_add_co_u32 v0, vcc_lo, v0, v6
	v_add_co_ci_u32_e32 v5, vcc_lo, v5, v7, vcc_lo
	s_delay_alu instid0(VALU_DEP_2) | instskip(SKIP_1) | instid1(VALU_DEP_3)
	v_mul_hi_u32 v6, s2, v0
	v_mul_lo_u32 v8, s7, v0
	v_mul_lo_u32 v7, s2, v5
	s_delay_alu instid0(VALU_DEP_1) | instskip(SKIP_1) | instid1(VALU_DEP_2)
	v_add_nc_u32_e32 v6, v6, v7
	v_mul_lo_u32 v7, s2, v0
	v_add_nc_u32_e32 v6, v6, v8
	s_delay_alu instid0(VALU_DEP_2) | instskip(NEXT) | instid1(VALU_DEP_2)
	v_mul_hi_u32 v8, v0, v7
	v_mul_lo_u32 v9, v0, v6
	v_mul_hi_u32 v10, v0, v6
	v_mul_hi_u32 v12, v5, v7
	v_mul_lo_u32 v7, v5, v7
	v_mul_hi_u32 v13, v5, v6
	v_mul_lo_u32 v6, v5, v6
	v_add_co_u32 v8, vcc_lo, v8, v9
	v_add_co_ci_u32_e32 v9, vcc_lo, 0, v10, vcc_lo
	s_delay_alu instid0(VALU_DEP_2) | instskip(NEXT) | instid1(VALU_DEP_2)
	v_add_co_u32 v7, vcc_lo, v8, v7
	v_add_co_ci_u32_e32 v7, vcc_lo, v9, v12, vcc_lo
	v_add_co_ci_u32_e32 v8, vcc_lo, 0, v13, vcc_lo
	v_add_co_u32 v9, vcc_lo, v3, v11
	v_add_co_ci_u32_e32 v10, vcc_lo, v4, v11, vcc_lo
	s_delay_alu instid0(VALU_DEP_4) | instskip(NEXT) | instid1(VALU_DEP_4)
	v_add_co_u32 v6, vcc_lo, v7, v6
	v_add_co_ci_u32_e32 v7, vcc_lo, 0, v8, vcc_lo
	s_delay_alu instid0(VALU_DEP_4) | instskip(NEXT) | instid1(VALU_DEP_3)
	v_xor_b32_e32 v12, v9, v11
	v_add_co_u32 v0, vcc_lo, v0, v6
	s_delay_alu instid0(VALU_DEP_3) | instskip(SKIP_1) | instid1(VALU_DEP_3)
	v_add_co_ci_u32_e32 v13, vcc_lo, v5, v7, vcc_lo
	v_xor_b32_e32 v14, v10, v11
	v_mul_hi_u32 v15, v12, v0
	s_delay_alu instid0(VALU_DEP_3) | instskip(NEXT) | instid1(VALU_DEP_3)
	v_mad_u64_u32 v[5:6], null, v12, v13, 0
	v_mad_u64_u32 v[7:8], null, v14, v0, 0
	;; [unrolled: 1-line block ×3, first 2 shown]
	s_delay_alu instid0(VALU_DEP_3) | instskip(NEXT) | instid1(VALU_DEP_4)
	v_add_co_u32 v0, vcc_lo, v15, v5
	v_add_co_ci_u32_e32 v5, vcc_lo, 0, v6, vcc_lo
	s_delay_alu instid0(VALU_DEP_2) | instskip(NEXT) | instid1(VALU_DEP_2)
	v_add_co_u32 v0, vcc_lo, v0, v7
	v_add_co_ci_u32_e32 v0, vcc_lo, v5, v8, vcc_lo
	v_add_co_ci_u32_e32 v5, vcc_lo, 0, v10, vcc_lo
	s_delay_alu instid0(VALU_DEP_2) | instskip(NEXT) | instid1(VALU_DEP_2)
	v_add_co_u32 v0, vcc_lo, v0, v9
	v_add_co_ci_u32_e32 v7, vcc_lo, 0, v5, vcc_lo
	s_delay_alu instid0(VALU_DEP_2) | instskip(SKIP_1) | instid1(VALU_DEP_3)
	v_mul_lo_u32 v8, s5, v0
	v_mad_u64_u32 v[5:6], null, s4, v0, 0
	v_mul_lo_u32 v0, s4, v7
	s_delay_alu instid0(VALU_DEP_2) | instskip(NEXT) | instid1(VALU_DEP_2)
	v_sub_co_u32 v5, vcc_lo, v12, v5
	v_add3_u32 v0, v6, v0, v8
	s_delay_alu instid0(VALU_DEP_1) | instskip(NEXT) | instid1(VALU_DEP_1)
	v_sub_nc_u32_e32 v6, v14, v0
	v_subrev_co_ci_u32_e64 v6, s2, s5, v6, vcc_lo
	s_delay_alu instid0(VALU_DEP_4) | instskip(SKIP_1) | instid1(VALU_DEP_3)
	v_sub_co_u32 v7, s2, v5, s4
	v_sub_co_ci_u32_e32 v0, vcc_lo, v14, v0, vcc_lo
	v_subrev_co_ci_u32_e64 v6, s2, 0, v6, s2
	s_delay_alu instid0(VALU_DEP_3) | instskip(SKIP_1) | instid1(VALU_DEP_3)
	v_cmp_le_u32_e32 vcc_lo, s4, v7
	v_cndmask_b32_e64 v8, 0, -1, vcc_lo
	v_cmp_le_u32_e32 vcc_lo, s5, v6
	v_cndmask_b32_e64 v9, 0, -1, vcc_lo
	;; [unrolled: 2-line block ×4, first 2 shown]
	v_cmp_eq_u32_e32 vcc_lo, s5, v6
	v_cndmask_b32_e32 v6, v9, v8, vcc_lo
	v_sub_co_u32 v8, vcc_lo, v7, s4
	v_cmp_eq_u32_e32 vcc_lo, s5, v0
	v_cndmask_b32_e32 v0, v12, v10, vcc_lo
	s_delay_alu instid0(VALU_DEP_4) | instskip(NEXT) | instid1(VALU_DEP_4)
	v_cmp_ne_u32_e32 vcc_lo, 0, v6
	v_cndmask_b32_e32 v6, v7, v8, vcc_lo
	s_delay_alu instid0(VALU_DEP_3) | instskip(NEXT) | instid1(VALU_DEP_2)
	v_cmp_ne_u32_e32 vcc_lo, 0, v0
	v_cndmask_b32_e32 v0, v5, v6, vcc_lo
	s_delay_alu instid0(VALU_DEP_1) | instskip(NEXT) | instid1(VALU_DEP_1)
	v_xor_b32_e32 v0, v0, v11
	v_sub_co_u32 v5, vcc_lo, v0, v11
.LBB41_7:
	s_and_not1_saveexec_b32 s2, s10
	s_cbranch_execz .LBB41_9
; %bb.8:
	v_cvt_f32_u32_e32 v0, s6
	s_sub_i32 s4, 0, s6
	s_delay_alu instid0(VALU_DEP_1) | instskip(SKIP_2) | instid1(VALU_DEP_1)
	v_rcp_iflag_f32_e32 v0, v0
	s_waitcnt_depctr 0xfff
	v_mul_f32_e32 v0, 0x4f7ffffe, v0
	v_cvt_u32_f32_e32 v0, v0
	s_delay_alu instid0(VALU_DEP_1) | instskip(NEXT) | instid1(VALU_DEP_1)
	v_mul_lo_u32 v5, s4, v0
	v_mul_hi_u32 v5, v0, v5
	s_delay_alu instid0(VALU_DEP_1) | instskip(NEXT) | instid1(VALU_DEP_1)
	v_add_nc_u32_e32 v0, v0, v5
	v_mul_hi_u32 v0, v3, v0
	s_delay_alu instid0(VALU_DEP_1) | instskip(NEXT) | instid1(VALU_DEP_1)
	v_mul_lo_u32 v0, v0, s6
	v_sub_nc_u32_e32 v0, v3, v0
	s_delay_alu instid0(VALU_DEP_1) | instskip(SKIP_1) | instid1(VALU_DEP_2)
	v_subrev_nc_u32_e32 v5, s6, v0
	v_cmp_le_u32_e32 vcc_lo, s6, v0
	v_cndmask_b32_e32 v0, v0, v5, vcc_lo
	s_delay_alu instid0(VALU_DEP_1) | instskip(SKIP_1) | instid1(VALU_DEP_2)
	v_subrev_nc_u32_e32 v5, s6, v0
	v_cmp_le_u32_e32 vcc_lo, s6, v0
	v_cndmask_b32_e32 v5, v0, v5, vcc_lo
.LBB41_9:
	s_or_b32 exec_lo, exec_lo, s2
	v_or_b32_e32 v7, s12, v2
	v_mov_b32_e32 v6, 0
	s_delay_alu instid0(VALU_DEP_1) | instskip(SKIP_1) | instid1(SALU_CYCLE_1)
	v_cmp_ne_u64_e32 vcc_lo, 0, v[6:7]
                                        ; implicit-def: $vgpr6_vgpr7
	s_and_saveexec_b32 s2, vcc_lo
	s_xor_b32 s10, exec_lo, s2
	s_cbranch_execz .LBB41_11
; %bb.10:
	s_ashr_i32 s4, s12, 31
	s_delay_alu instid0(SALU_CYCLE_1) | instskip(SKIP_2) | instid1(SALU_CYCLE_1)
	s_add_u32 s6, s3, s4
	s_mov_b32 s5, s4
	s_addc_u32 s7, s12, s4
	s_xor_b64 s[6:7], s[6:7], s[4:5]
	s_delay_alu instid0(SALU_CYCLE_1) | instskip(SKIP_3) | instid1(VALU_DEP_1)
	v_cvt_f32_u32_e32 v0, s6
	v_cvt_f32_u32_e32 v6, s7
	s_sub_u32 s2, 0, s6
	s_subb_u32 s5, 0, s7
	v_fmamk_f32 v0, v6, 0x4f800000, v0
	s_delay_alu instid0(VALU_DEP_1) | instskip(SKIP_2) | instid1(VALU_DEP_1)
	v_rcp_f32_e32 v0, v0
	s_waitcnt_depctr 0xfff
	v_mul_f32_e32 v0, 0x5f7ffffc, v0
	v_mul_f32_e32 v6, 0x2f800000, v0
	s_delay_alu instid0(VALU_DEP_1) | instskip(NEXT) | instid1(VALU_DEP_1)
	v_trunc_f32_e32 v6, v6
	v_fmamk_f32 v0, v6, 0xcf800000, v0
	v_cvt_u32_f32_e32 v6, v6
	s_delay_alu instid0(VALU_DEP_2) | instskip(NEXT) | instid1(VALU_DEP_2)
	v_cvt_u32_f32_e32 v0, v0
	v_mul_lo_u32 v7, s2, v6
	s_delay_alu instid0(VALU_DEP_2) | instskip(SKIP_1) | instid1(VALU_DEP_2)
	v_mul_hi_u32 v8, s2, v0
	v_mul_lo_u32 v9, s5, v0
	v_add_nc_u32_e32 v7, v8, v7
	v_mul_lo_u32 v8, s2, v0
	s_delay_alu instid0(VALU_DEP_2) | instskip(NEXT) | instid1(VALU_DEP_2)
	v_add_nc_u32_e32 v7, v7, v9
	v_mul_hi_u32 v9, v0, v8
	s_delay_alu instid0(VALU_DEP_2)
	v_mul_lo_u32 v10, v0, v7
	v_mul_hi_u32 v11, v0, v7
	v_mul_hi_u32 v12, v6, v8
	v_mul_lo_u32 v8, v6, v8
	v_mul_hi_u32 v13, v6, v7
	v_mul_lo_u32 v7, v6, v7
	v_add_co_u32 v9, vcc_lo, v9, v10
	v_add_co_ci_u32_e32 v10, vcc_lo, 0, v11, vcc_lo
	s_delay_alu instid0(VALU_DEP_2) | instskip(NEXT) | instid1(VALU_DEP_2)
	v_add_co_u32 v8, vcc_lo, v9, v8
	v_add_co_ci_u32_e32 v8, vcc_lo, v10, v12, vcc_lo
	v_add_co_ci_u32_e32 v9, vcc_lo, 0, v13, vcc_lo
	v_mov_b32_e32 v12, v2
	s_delay_alu instid0(VALU_DEP_3) | instskip(NEXT) | instid1(VALU_DEP_3)
	v_add_co_u32 v7, vcc_lo, v8, v7
	v_add_co_ci_u32_e32 v8, vcc_lo, 0, v9, vcc_lo
	v_mov_b32_e32 v13, v2
	s_delay_alu instid0(VALU_DEP_3) | instskip(NEXT) | instid1(VALU_DEP_3)
	v_add_co_u32 v0, vcc_lo, v0, v7
	v_add_co_ci_u32_e32 v6, vcc_lo, v6, v8, vcc_lo
	s_delay_alu instid0(VALU_DEP_2) | instskip(SKIP_1) | instid1(VALU_DEP_3)
	v_mul_hi_u32 v7, s2, v0
	v_mul_lo_u32 v9, s5, v0
	v_mul_lo_u32 v8, s2, v6
	s_delay_alu instid0(VALU_DEP_1) | instskip(SKIP_1) | instid1(VALU_DEP_2)
	v_add_nc_u32_e32 v7, v7, v8
	v_mul_lo_u32 v8, s2, v0
	v_add_nc_u32_e32 v7, v7, v9
	s_delay_alu instid0(VALU_DEP_2) | instskip(NEXT) | instid1(VALU_DEP_2)
	v_mul_hi_u32 v9, v0, v8
	v_mul_lo_u32 v10, v0, v7
	v_mul_hi_u32 v11, v0, v7
	v_mul_hi_u32 v14, v6, v8
	v_mul_lo_u32 v8, v6, v8
	v_mul_hi_u32 v15, v6, v7
	v_mul_lo_u32 v7, v6, v7
	v_add_co_u32 v9, vcc_lo, v9, v10
	v_add_co_ci_u32_e32 v10, vcc_lo, 0, v11, vcc_lo
	s_delay_alu instid0(VALU_DEP_2) | instskip(NEXT) | instid1(VALU_DEP_2)
	v_add_co_u32 v8, vcc_lo, v9, v8
	v_add_co_ci_u32_e32 v8, vcc_lo, v10, v14, vcc_lo
	v_add_co_ci_u32_e32 v9, vcc_lo, 0, v15, vcc_lo
	v_add_co_u32 v10, vcc_lo, v1, v12
	v_add_co_ci_u32_e32 v11, vcc_lo, v2, v13, vcc_lo
	s_delay_alu instid0(VALU_DEP_4) | instskip(NEXT) | instid1(VALU_DEP_4)
	v_add_co_u32 v7, vcc_lo, v8, v7
	v_add_co_ci_u32_e32 v8, vcc_lo, 0, v9, vcc_lo
	s_delay_alu instid0(VALU_DEP_4) | instskip(NEXT) | instid1(VALU_DEP_3)
	v_xor_b32_e32 v14, v10, v12
	v_add_co_u32 v0, vcc_lo, v0, v7
	s_delay_alu instid0(VALU_DEP_3) | instskip(SKIP_1) | instid1(VALU_DEP_3)
	v_add_co_ci_u32_e32 v15, vcc_lo, v6, v8, vcc_lo
	v_xor_b32_e32 v13, v11, v13
	v_mul_hi_u32 v16, v14, v0
	s_delay_alu instid0(VALU_DEP_3) | instskip(NEXT) | instid1(VALU_DEP_3)
	v_mad_u64_u32 v[6:7], null, v14, v15, 0
	v_mad_u64_u32 v[8:9], null, v13, v0, 0
	;; [unrolled: 1-line block ×3, first 2 shown]
	s_delay_alu instid0(VALU_DEP_3) | instskip(NEXT) | instid1(VALU_DEP_4)
	v_add_co_u32 v0, vcc_lo, v16, v6
	v_add_co_ci_u32_e32 v6, vcc_lo, 0, v7, vcc_lo
	s_delay_alu instid0(VALU_DEP_2) | instskip(NEXT) | instid1(VALU_DEP_2)
	v_add_co_u32 v0, vcc_lo, v0, v8
	v_add_co_ci_u32_e32 v0, vcc_lo, v6, v9, vcc_lo
	v_add_co_ci_u32_e32 v6, vcc_lo, 0, v11, vcc_lo
	s_delay_alu instid0(VALU_DEP_2) | instskip(NEXT) | instid1(VALU_DEP_2)
	v_add_co_u32 v0, vcc_lo, v0, v10
	v_add_co_ci_u32_e32 v8, vcc_lo, 0, v6, vcc_lo
	s_delay_alu instid0(VALU_DEP_2) | instskip(SKIP_1) | instid1(VALU_DEP_3)
	v_mul_lo_u32 v9, s7, v0
	v_mad_u64_u32 v[6:7], null, s6, v0, 0
	v_mul_lo_u32 v8, s6, v8
	s_delay_alu instid0(VALU_DEP_2) | instskip(NEXT) | instid1(VALU_DEP_2)
	v_sub_co_u32 v6, vcc_lo, v14, v6
	v_add3_u32 v7, v7, v8, v9
	v_add_co_u32 v9, s2, v0, 2
	s_delay_alu instid0(VALU_DEP_2) | instskip(NEXT) | instid1(VALU_DEP_1)
	v_sub_nc_u32_e32 v8, v13, v7
	v_subrev_co_ci_u32_e64 v8, s2, s7, v8, vcc_lo
	v_sub_co_u32 v10, s2, v6, s6
	v_sub_co_ci_u32_e32 v7, vcc_lo, v13, v7, vcc_lo
	s_delay_alu instid0(VALU_DEP_3) | instskip(NEXT) | instid1(VALU_DEP_3)
	v_subrev_co_ci_u32_e64 v8, s2, 0, v8, s2
	v_cmp_le_u32_e32 vcc_lo, s6, v10
	v_cndmask_b32_e64 v10, 0, -1, vcc_lo
	s_delay_alu instid0(VALU_DEP_3)
	v_cmp_le_u32_e32 vcc_lo, s7, v8
	v_cndmask_b32_e64 v11, 0, -1, vcc_lo
	v_cmp_le_u32_e32 vcc_lo, s6, v6
	v_cndmask_b32_e64 v6, 0, -1, vcc_lo
	;; [unrolled: 2-line block ×3, first 2 shown]
	v_cmp_eq_u32_e32 vcc_lo, s7, v8
	v_cndmask_b32_e32 v8, v11, v10, vcc_lo
	v_add_co_u32 v10, vcc_lo, v0, 1
	v_cmp_eq_u32_e32 vcc_lo, s7, v7
	v_cndmask_b32_e32 v6, v13, v6, vcc_lo
	s_delay_alu instid0(VALU_DEP_4) | instskip(NEXT) | instid1(VALU_DEP_4)
	v_cmp_ne_u32_e32 vcc_lo, 0, v8
	v_cndmask_b32_e32 v7, v10, v9, vcc_lo
	s_delay_alu instid0(VALU_DEP_3) | instskip(SKIP_1) | instid1(VALU_DEP_3)
	v_cmp_ne_u32_e32 vcc_lo, 0, v6
	v_xor_b32_e32 v6, s4, v12
	v_cndmask_b32_e32 v0, v0, v7, vcc_lo
	s_delay_alu instid0(VALU_DEP_1) | instskip(NEXT) | instid1(VALU_DEP_1)
	v_xor_b32_e32 v0, v0, v6
	v_sub_co_u32 v6, vcc_lo, v0, v6
.LBB41_11:
	s_and_not1_saveexec_b32 s2, s10
	s_cbranch_execz .LBB41_13
; %bb.12:
	v_cvt_f32_u32_e32 v0, s3
	s_sub_i32 s4, 0, s3
	s_delay_alu instid0(VALU_DEP_1) | instskip(SKIP_2) | instid1(VALU_DEP_1)
	v_rcp_iflag_f32_e32 v0, v0
	s_waitcnt_depctr 0xfff
	v_mul_f32_e32 v0, 0x4f7ffffe, v0
	v_cvt_u32_f32_e32 v0, v0
	s_delay_alu instid0(VALU_DEP_1) | instskip(NEXT) | instid1(VALU_DEP_1)
	v_mul_lo_u32 v6, s4, v0
	v_mul_hi_u32 v6, v0, v6
	s_delay_alu instid0(VALU_DEP_1) | instskip(NEXT) | instid1(VALU_DEP_1)
	v_add_nc_u32_e32 v0, v0, v6
	v_mul_hi_u32 v0, v1, v0
	s_delay_alu instid0(VALU_DEP_1) | instskip(SKIP_1) | instid1(VALU_DEP_2)
	v_mul_lo_u32 v6, v0, s3
	v_add_nc_u32_e32 v7, 1, v0
	v_sub_nc_u32_e32 v6, v1, v6
	s_delay_alu instid0(VALU_DEP_1) | instskip(SKIP_1) | instid1(VALU_DEP_2)
	v_subrev_nc_u32_e32 v8, s3, v6
	v_cmp_le_u32_e32 vcc_lo, s3, v6
	v_cndmask_b32_e32 v6, v6, v8, vcc_lo
	v_cndmask_b32_e32 v0, v0, v7, vcc_lo
	s_delay_alu instid0(VALU_DEP_2) | instskip(NEXT) | instid1(VALU_DEP_2)
	v_cmp_le_u32_e32 vcc_lo, s3, v6
	v_add_nc_u32_e32 v7, 1, v0
	s_delay_alu instid0(VALU_DEP_1)
	v_cndmask_b32_e32 v6, v0, v7, vcc_lo
.LBB41_13:
	s_or_b32 exec_lo, exec_lo, s2
	s_clause 0x4
	s_load_b32 s10, s[0:1], 0xc0
	s_load_b128 s[4:7], s[0:1], 0xb0
	s_load_b512 s[16:31], s[0:1], 0x18
	s_load_b64 s[2:3], s[0:1], 0x0
	s_load_b64 s[12:13], s[0:1], 0xa8
	v_mul_lo_u32 v0, v4, s8
	v_mad_u64_u32 v[7:8], null, v3, s8, 0
	v_mul_lo_u32 v9, v3, s9
	s_delay_alu instid0(VALU_DEP_2) | instskip(NEXT) | instid1(VALU_DEP_2)
	v_sub_co_u32 v7, vcc_lo, v1, v7
	v_add3_u32 v0, v8, v9, v0
	s_delay_alu instid0(VALU_DEP_1)
	v_sub_co_ci_u32_e32 v9, vcc_lo, v2, v0, vcc_lo
	s_waitcnt lgkmcnt(0)
	s_add_i32 s14, s14, s7
	s_sub_i32 s7, 0, s6
	s_add_i32 s15, s15, s10
	s_max_i32 s10, s6, 0
	s_max_i32 s7, s7, 0
	s_sub_i32 s8, 0, s5
	s_sub_i32 s7, s7, s10
	s_add_i32 s10, s4, s16
	s_ashr_i32 s16, s15, 31
	s_add_i32 s10, s10, -1
	s_sub_i32 s9, 0, s4
	s_max_i32 s17, s4, 0
	v_maxmin_i32 v3, s4, v6, s10
	s_mul_i32 s4, s22, s16
	s_mul_hi_u32 s10, s22, s15
	s_max_i32 s11, s5, 0
	s_max_i32 s8, s8, 0
	s_add_i32 s19, s6, s20
	s_add_i32 s18, s5, s18
	s_max_i32 s9, s9, 0
	s_add_i32 s4, s10, s4
	s_mul_i32 s10, s23, s15
	s_sub_i32 s8, s8, s11
	s_mul_i32 s11, s22, s15
	s_add_i32 s19, s19, -1
	s_add_i32 s18, s18, -1
	s_sub_i32 s9, s9, s17
	s_add_i32 s4, s4, s10
	s_add_u32 s2, s2, s11
	s_addc_u32 s3, s3, s4
	s_ashr_i32 s17, s14, 31
	v_add_nc_u32_e32 v10, s9, v3
	s_mul_i32 s4, s24, s17
	s_mul_hi_u32 s9, s24, s14
	v_maxmin_i32 v11, s5, v5, s18
	s_add_i32 s4, s9, s4
	s_mul_i32 s5, s25, s14
	v_ashrrev_i32_e32 v3, 31, v10
	s_mul_i32 s9, s24, s14
	s_add_i32 s4, s4, s5
	s_add_u32 s2, s2, s9
	s_addc_u32 s3, s3, s4
	v_mul_lo_u32 v12, s26, v3
	v_mad_u64_u32 v[3:4], null, s26, v10, s[2:3]
	v_mul_lo_u32 v10, s27, v10
	v_add_nc_u32_e32 v11, s8, v11
	v_maxmin_i32 v2, s6, v7, s19
	s_delay_alu instid0(VALU_DEP_2) | instskip(NEXT) | instid1(VALU_DEP_4)
	v_ashrrev_i32_e32 v8, 31, v11
	v_add3_u32 v4, v10, v4, v12
	s_delay_alu instid0(VALU_DEP_1) | instskip(NEXT) | instid1(VALU_DEP_3)
	v_mad_u64_u32 v[0:1], null, s28, v11, v[3:4]
	v_mul_lo_u32 v3, s28, v8
	v_mul_lo_u32 v4, s29, v11
	v_add_nc_u32_e32 v8, s7, v2
	s_delay_alu instid0(VALU_DEP_2) | instskip(NEXT) | instid1(VALU_DEP_2)
	v_add3_u32 v1, v4, v1, v3
	v_ashrrev_i32_e32 v4, 31, v8
	s_delay_alu instid0(VALU_DEP_2) | instskip(NEXT) | instid1(VALU_DEP_2)
	v_mad_u64_u32 v[2:3], null, s30, v8, v[0:1]
	v_mul_lo_u32 v0, s30, v4
	v_mul_lo_u32 v1, s31, v8
	s_delay_alu instid0(VALU_DEP_1)
	v_add3_u32 v3, v1, v3, v0
	global_load_u8 v4, v[2:3], off
	s_clause 0x1
	s_load_b256 s[4:11], s[0:1], 0x88
	s_load_b64 s[0:1], s[0:1], 0x58
	v_ashrrev_i32_e32 v2, 31, v6
	s_waitcnt lgkmcnt(0)
	s_mul_i32 s2, s4, s16
	s_mul_hi_u32 s3, s4, s15
	s_mul_i32 s4, s4, s15
	s_add_i32 s2, s3, s2
	s_mul_i32 s3, s5, s15
	v_mul_lo_u32 v3, s9, v6
	s_add_i32 s2, s2, s3
	s_add_u32 s0, s0, s4
	s_mul_i32 s3, s6, s17
	s_mul_hi_u32 s4, s6, s14
	s_addc_u32 s1, s1, s2
	s_add_i32 s2, s4, s3
	s_mul_i32 s3, s7, s14
	s_mul_i32 s4, s6, s14
	s_add_i32 s2, s2, s3
	s_add_u32 s0, s0, s4
	s_addc_u32 s1, s1, s2
	v_mul_lo_u32 v2, s8, v2
	v_mad_u64_u32 v[0:1], null, s8, v6, s[0:1]
	v_ashrrev_i32_e32 v6, 31, v5
	s_delay_alu instid0(VALU_DEP_2) | instskip(NEXT) | instid1(VALU_DEP_1)
	v_add3_u32 v1, v3, v1, v2
	v_mad_u64_u32 v[2:3], null, s10, v5, v[0:1]
	v_mul_lo_u32 v0, s11, v5
	s_delay_alu instid0(VALU_DEP_4) | instskip(NEXT) | instid1(VALU_DEP_1)
	v_mul_lo_u32 v1, s10, v6
	v_add3_u32 v3, v0, v3, v1
	s_delay_alu instid0(VALU_DEP_1) | instskip(SKIP_2) | instid1(VALU_DEP_1)
	v_mad_u64_u32 v[0:1], null, s12, v7, v[2:3]
	v_mul_lo_u32 v2, s12, v9
	v_mul_lo_u32 v3, s13, v7
	v_add3_u32 v1, v3, v1, v2
	s_waitcnt vmcnt(0)
	global_store_b8 v[0:1], v4, off
.LBB41_14:
	s_nop 0
	s_sendmsg sendmsg(MSG_DEALLOC_VGPRS)
	s_endpgm
	.section	.rodata,"a",@progbits
	.p2align	6, 0x0
	.amdhsa_kernel _ZN2at6native12_GLOBAL__N_132replication_pad_forward_kernel3dIaEEvN5torch10headeronly6detail27GenericPackedTensorAccessorINS5_14TensorAccessorIN3c108ArrayRefIlEEKT_Lm4ENS4_16DefaultPtrTraitsElEENS_6detail16IndexBoundsCheckILm5ElEESC_Lm5ESD_lEENS6_INS7_ISA_SB_Lm4ESD_lEESH_SB_Lm5ESD_lEEiiiii
		.amdhsa_group_segment_fixed_size 0
		.amdhsa_private_segment_fixed_size 0
		.amdhsa_kernarg_size 456
		.amdhsa_user_sgpr_count 13
		.amdhsa_user_sgpr_dispatch_ptr 0
		.amdhsa_user_sgpr_queue_ptr 0
		.amdhsa_user_sgpr_kernarg_segment_ptr 1
		.amdhsa_user_sgpr_dispatch_id 0
		.amdhsa_user_sgpr_private_segment_size 0
		.amdhsa_wavefront_size32 1
		.amdhsa_uses_dynamic_stack 0
		.amdhsa_enable_private_segment 0
		.amdhsa_system_sgpr_workgroup_id_x 1
		.amdhsa_system_sgpr_workgroup_id_y 1
		.amdhsa_system_sgpr_workgroup_id_z 1
		.amdhsa_system_sgpr_workgroup_info 0
		.amdhsa_system_vgpr_workitem_id 0
		.amdhsa_next_free_vgpr 17
		.amdhsa_next_free_sgpr 32
		.amdhsa_reserve_vcc 1
		.amdhsa_float_round_mode_32 0
		.amdhsa_float_round_mode_16_64 0
		.amdhsa_float_denorm_mode_32 3
		.amdhsa_float_denorm_mode_16_64 3
		.amdhsa_dx10_clamp 1
		.amdhsa_ieee_mode 1
		.amdhsa_fp16_overflow 0
		.amdhsa_workgroup_processor_mode 1
		.amdhsa_memory_ordered 1
		.amdhsa_forward_progress 0
		.amdhsa_shared_vgpr_count 0
		.amdhsa_exception_fp_ieee_invalid_op 0
		.amdhsa_exception_fp_denorm_src 0
		.amdhsa_exception_fp_ieee_div_zero 0
		.amdhsa_exception_fp_ieee_overflow 0
		.amdhsa_exception_fp_ieee_underflow 0
		.amdhsa_exception_fp_ieee_inexact 0
		.amdhsa_exception_int_div_zero 0
	.end_amdhsa_kernel
	.section	.text._ZN2at6native12_GLOBAL__N_132replication_pad_forward_kernel3dIaEEvN5torch10headeronly6detail27GenericPackedTensorAccessorINS5_14TensorAccessorIN3c108ArrayRefIlEEKT_Lm4ENS4_16DefaultPtrTraitsElEENS_6detail16IndexBoundsCheckILm5ElEESC_Lm5ESD_lEENS6_INS7_ISA_SB_Lm4ESD_lEESH_SB_Lm5ESD_lEEiiiii,"axG",@progbits,_ZN2at6native12_GLOBAL__N_132replication_pad_forward_kernel3dIaEEvN5torch10headeronly6detail27GenericPackedTensorAccessorINS5_14TensorAccessorIN3c108ArrayRefIlEEKT_Lm4ENS4_16DefaultPtrTraitsElEENS_6detail16IndexBoundsCheckILm5ElEESC_Lm5ESD_lEENS6_INS7_ISA_SB_Lm4ESD_lEESH_SB_Lm5ESD_lEEiiiii,comdat
.Lfunc_end41:
	.size	_ZN2at6native12_GLOBAL__N_132replication_pad_forward_kernel3dIaEEvN5torch10headeronly6detail27GenericPackedTensorAccessorINS5_14TensorAccessorIN3c108ArrayRefIlEEKT_Lm4ENS4_16DefaultPtrTraitsElEENS_6detail16IndexBoundsCheckILm5ElEESC_Lm5ESD_lEENS6_INS7_ISA_SB_Lm4ESD_lEESH_SB_Lm5ESD_lEEiiiii, .Lfunc_end41-_ZN2at6native12_GLOBAL__N_132replication_pad_forward_kernel3dIaEEvN5torch10headeronly6detail27GenericPackedTensorAccessorINS5_14TensorAccessorIN3c108ArrayRefIlEEKT_Lm4ENS4_16DefaultPtrTraitsElEENS_6detail16IndexBoundsCheckILm5ElEESC_Lm5ESD_lEENS6_INS7_ISA_SB_Lm4ESD_lEESH_SB_Lm5ESD_lEEiiiii
                                        ; -- End function
	.section	.AMDGPU.csdata,"",@progbits
; Kernel info:
; codeLenInByte = 3660
; NumSgprs: 34
; NumVgprs: 17
; ScratchSize: 0
; MemoryBound: 0
; FloatMode: 240
; IeeeMode: 1
; LDSByteSize: 0 bytes/workgroup (compile time only)
; SGPRBlocks: 4
; VGPRBlocks: 2
; NumSGPRsForWavesPerEU: 34
; NumVGPRsForWavesPerEU: 17
; Occupancy: 16
; WaveLimiterHint : 1
; COMPUTE_PGM_RSRC2:SCRATCH_EN: 0
; COMPUTE_PGM_RSRC2:USER_SGPR: 13
; COMPUTE_PGM_RSRC2:TRAP_HANDLER: 0
; COMPUTE_PGM_RSRC2:TGID_X_EN: 1
; COMPUTE_PGM_RSRC2:TGID_Y_EN: 1
; COMPUTE_PGM_RSRC2:TGID_Z_EN: 1
; COMPUTE_PGM_RSRC2:TIDIG_COMP_CNT: 0
	.section	.text._ZN2at6native12_GLOBAL__N_132replication_pad_forward_kernel3dIiEEvN5torch10headeronly6detail27GenericPackedTensorAccessorINS5_14TensorAccessorIN3c108ArrayRefIlEEKT_Lm4ENS4_16DefaultPtrTraitsElEENS_6detail16IndexBoundsCheckILm5ElEESC_Lm5ESD_lEENS6_INS7_ISA_SB_Lm4ESD_lEESH_SB_Lm5ESD_lEEiiiii,"axG",@progbits,_ZN2at6native12_GLOBAL__N_132replication_pad_forward_kernel3dIiEEvN5torch10headeronly6detail27GenericPackedTensorAccessorINS5_14TensorAccessorIN3c108ArrayRefIlEEKT_Lm4ENS4_16DefaultPtrTraitsElEENS_6detail16IndexBoundsCheckILm5ElEESC_Lm5ESD_lEENS6_INS7_ISA_SB_Lm4ESD_lEESH_SB_Lm5ESD_lEEiiiii,comdat
	.globl	_ZN2at6native12_GLOBAL__N_132replication_pad_forward_kernel3dIiEEvN5torch10headeronly6detail27GenericPackedTensorAccessorINS5_14TensorAccessorIN3c108ArrayRefIlEEKT_Lm4ENS4_16DefaultPtrTraitsElEENS_6detail16IndexBoundsCheckILm5ElEESC_Lm5ESD_lEENS6_INS7_ISA_SB_Lm4ESD_lEESH_SB_Lm5ESD_lEEiiiii ; -- Begin function _ZN2at6native12_GLOBAL__N_132replication_pad_forward_kernel3dIiEEvN5torch10headeronly6detail27GenericPackedTensorAccessorINS5_14TensorAccessorIN3c108ArrayRefIlEEKT_Lm4ENS4_16DefaultPtrTraitsElEENS_6detail16IndexBoundsCheckILm5ElEESC_Lm5ESD_lEENS6_INS7_ISA_SB_Lm4ESD_lEESH_SB_Lm5ESD_lEEiiiii
	.p2align	8
	.type	_ZN2at6native12_GLOBAL__N_132replication_pad_forward_kernel3dIiEEvN5torch10headeronly6detail27GenericPackedTensorAccessorINS5_14TensorAccessorIN3c108ArrayRefIlEEKT_Lm4ENS4_16DefaultPtrTraitsElEENS_6detail16IndexBoundsCheckILm5ElEESC_Lm5ESD_lEENS6_INS7_ISA_SB_Lm4ESD_lEESH_SB_Lm5ESD_lEEiiiii,@function
_ZN2at6native12_GLOBAL__N_132replication_pad_forward_kernel3dIiEEvN5torch10headeronly6detail27GenericPackedTensorAccessorINS5_14TensorAccessorIN3c108ArrayRefIlEEKT_Lm4ENS4_16DefaultPtrTraitsElEENS_6detail16IndexBoundsCheckILm5ElEESC_Lm5ESD_lEENS6_INS7_ISA_SB_Lm4ESD_lEESH_SB_Lm5ESD_lEEiiiii: ; @_ZN2at6native12_GLOBAL__N_132replication_pad_forward_kernel3dIiEEvN5torch10headeronly6detail27GenericPackedTensorAccessorINS5_14TensorAccessorIN3c108ArrayRefIlEEKT_Lm4ENS4_16DefaultPtrTraitsElEENS_6detail16IndexBoundsCheckILm5ElEESC_Lm5ESD_lEENS6_INS7_ISA_SB_Lm4ESD_lEESH_SB_Lm5ESD_lEEiiiii
; %bb.0:
	s_clause 0x2
	s_load_b32 s2, s[0:1], 0xd4
	s_load_b128 s[4:7], s[0:1], 0x70
	s_load_b64 s[8:9], s[0:1], 0x80
	s_waitcnt lgkmcnt(0)
	s_and_b32 s2, s2, 0xffff
	s_delay_alu instid0(SALU_CYCLE_1)
	v_mad_u64_u32 v[1:2], null, s13, s2, v[0:1]
	s_mul_i32 s10, s8, s7
	s_mul_hi_u32 s11, s8, s6
	s_mul_i32 s2, s9, s6
	s_mul_i32 s3, s8, s6
	s_add_i32 s12, s11, s10
	s_mul_i32 s5, s3, s5
	s_mul_hi_u32 s10, s3, s4
	s_add_i32 s12, s12, s2
	v_ashrrev_i32_e32 v2, 31, v1
	s_add_i32 s2, s10, s5
	s_mul_i32 s5, s12, s4
	s_mul_i32 s4, s3, s4
	s_add_i32 s5, s2, s5
	s_mov_b32 s2, exec_lo
	v_cmpx_gt_i64_e64 s[4:5], v[1:2]
	s_cbranch_execz .LBB42_14
; %bb.1:
	v_or_b32_e32 v4, s9, v2
	v_mov_b32_e32 v3, 0
	s_delay_alu instid0(VALU_DEP_1) | instskip(SKIP_1) | instid1(SALU_CYCLE_1)
	v_cmp_ne_u64_e32 vcc_lo, 0, v[3:4]
                                        ; implicit-def: $vgpr3_vgpr4
	s_and_saveexec_b32 s2, vcc_lo
	s_xor_b32 s13, exec_lo, s2
	s_cbranch_execz .LBB42_3
; %bb.2:
	s_ashr_i32 s4, s9, 31
	s_delay_alu instid0(SALU_CYCLE_1) | instskip(SKIP_2) | instid1(SALU_CYCLE_1)
	s_add_u32 s10, s8, s4
	s_mov_b32 s5, s4
	s_addc_u32 s11, s9, s4
	s_xor_b64 s[10:11], s[10:11], s[4:5]
	s_delay_alu instid0(SALU_CYCLE_1) | instskip(SKIP_3) | instid1(VALU_DEP_1)
	v_cvt_f32_u32_e32 v0, s10
	v_cvt_f32_u32_e32 v3, s11
	s_sub_u32 s2, 0, s10
	s_subb_u32 s5, 0, s11
	v_fmamk_f32 v0, v3, 0x4f800000, v0
	s_delay_alu instid0(VALU_DEP_1) | instskip(SKIP_2) | instid1(VALU_DEP_1)
	v_rcp_f32_e32 v0, v0
	s_waitcnt_depctr 0xfff
	v_mul_f32_e32 v0, 0x5f7ffffc, v0
	v_mul_f32_e32 v3, 0x2f800000, v0
	s_delay_alu instid0(VALU_DEP_1) | instskip(NEXT) | instid1(VALU_DEP_1)
	v_trunc_f32_e32 v3, v3
	v_fmamk_f32 v0, v3, 0xcf800000, v0
	v_cvt_u32_f32_e32 v3, v3
	s_delay_alu instid0(VALU_DEP_2) | instskip(NEXT) | instid1(VALU_DEP_2)
	v_cvt_u32_f32_e32 v0, v0
	v_mul_lo_u32 v4, s2, v3
	s_delay_alu instid0(VALU_DEP_2) | instskip(SKIP_1) | instid1(VALU_DEP_2)
	v_mul_hi_u32 v5, s2, v0
	v_mul_lo_u32 v6, s5, v0
	v_add_nc_u32_e32 v4, v5, v4
	v_mul_lo_u32 v5, s2, v0
	s_delay_alu instid0(VALU_DEP_2) | instskip(NEXT) | instid1(VALU_DEP_2)
	v_add_nc_u32_e32 v4, v4, v6
	v_mul_hi_u32 v6, v0, v5
	s_delay_alu instid0(VALU_DEP_2)
	v_mul_lo_u32 v7, v0, v4
	v_mul_hi_u32 v8, v0, v4
	v_mul_hi_u32 v9, v3, v5
	v_mul_lo_u32 v5, v3, v5
	v_mul_hi_u32 v10, v3, v4
	v_mul_lo_u32 v4, v3, v4
	v_add_co_u32 v6, vcc_lo, v6, v7
	v_add_co_ci_u32_e32 v7, vcc_lo, 0, v8, vcc_lo
	s_delay_alu instid0(VALU_DEP_2) | instskip(NEXT) | instid1(VALU_DEP_2)
	v_add_co_u32 v5, vcc_lo, v6, v5
	v_add_co_ci_u32_e32 v5, vcc_lo, v7, v9, vcc_lo
	v_add_co_ci_u32_e32 v6, vcc_lo, 0, v10, vcc_lo
	v_ashrrev_i32_e32 v9, 31, v2
	s_delay_alu instid0(VALU_DEP_3) | instskip(NEXT) | instid1(VALU_DEP_3)
	v_add_co_u32 v4, vcc_lo, v5, v4
	v_add_co_ci_u32_e32 v5, vcc_lo, 0, v6, vcc_lo
	s_delay_alu instid0(VALU_DEP_2) | instskip(NEXT) | instid1(VALU_DEP_2)
	v_add_co_u32 v0, vcc_lo, v0, v4
	v_add_co_ci_u32_e32 v3, vcc_lo, v3, v5, vcc_lo
	s_delay_alu instid0(VALU_DEP_2) | instskip(SKIP_1) | instid1(VALU_DEP_3)
	v_mul_hi_u32 v4, s2, v0
	v_mul_lo_u32 v6, s5, v0
	v_mul_lo_u32 v5, s2, v3
	s_delay_alu instid0(VALU_DEP_1) | instskip(SKIP_1) | instid1(VALU_DEP_2)
	v_add_nc_u32_e32 v4, v4, v5
	v_mul_lo_u32 v5, s2, v0
	v_add_nc_u32_e32 v4, v4, v6
	s_delay_alu instid0(VALU_DEP_2) | instskip(NEXT) | instid1(VALU_DEP_2)
	v_mul_hi_u32 v6, v0, v5
	v_mul_lo_u32 v7, v0, v4
	v_mul_hi_u32 v8, v0, v4
	v_mul_hi_u32 v10, v3, v5
	v_mul_lo_u32 v5, v3, v5
	v_mul_hi_u32 v11, v3, v4
	v_mul_lo_u32 v4, v3, v4
	v_add_co_u32 v6, vcc_lo, v6, v7
	v_add_co_ci_u32_e32 v7, vcc_lo, 0, v8, vcc_lo
	s_delay_alu instid0(VALU_DEP_2) | instskip(NEXT) | instid1(VALU_DEP_2)
	v_add_co_u32 v5, vcc_lo, v6, v5
	v_add_co_ci_u32_e32 v5, vcc_lo, v7, v10, vcc_lo
	v_add_co_ci_u32_e32 v6, vcc_lo, 0, v11, vcc_lo
	v_add_co_u32 v7, vcc_lo, v1, v9
	v_add_co_ci_u32_e32 v8, vcc_lo, v2, v9, vcc_lo
	s_delay_alu instid0(VALU_DEP_4) | instskip(NEXT) | instid1(VALU_DEP_4)
	v_add_co_u32 v4, vcc_lo, v5, v4
	v_add_co_ci_u32_e32 v5, vcc_lo, 0, v6, vcc_lo
	s_delay_alu instid0(VALU_DEP_4) | instskip(NEXT) | instid1(VALU_DEP_3)
	v_xor_b32_e32 v10, v7, v9
	v_add_co_u32 v0, vcc_lo, v0, v4
	s_delay_alu instid0(VALU_DEP_3) | instskip(SKIP_1) | instid1(VALU_DEP_3)
	v_add_co_ci_u32_e32 v11, vcc_lo, v3, v5, vcc_lo
	v_xor_b32_e32 v12, v8, v9
	v_mul_hi_u32 v13, v10, v0
	s_delay_alu instid0(VALU_DEP_3) | instskip(NEXT) | instid1(VALU_DEP_3)
	v_mad_u64_u32 v[3:4], null, v10, v11, 0
	v_mad_u64_u32 v[5:6], null, v12, v0, 0
	v_mad_u64_u32 v[7:8], null, v12, v11, 0
	s_delay_alu instid0(VALU_DEP_3) | instskip(NEXT) | instid1(VALU_DEP_4)
	v_add_co_u32 v0, vcc_lo, v13, v3
	v_add_co_ci_u32_e32 v3, vcc_lo, 0, v4, vcc_lo
	s_delay_alu instid0(VALU_DEP_2) | instskip(NEXT) | instid1(VALU_DEP_2)
	v_add_co_u32 v0, vcc_lo, v0, v5
	v_add_co_ci_u32_e32 v0, vcc_lo, v3, v6, vcc_lo
	v_add_co_ci_u32_e32 v3, vcc_lo, 0, v8, vcc_lo
	s_delay_alu instid0(VALU_DEP_2) | instskip(NEXT) | instid1(VALU_DEP_2)
	v_add_co_u32 v0, vcc_lo, v0, v7
	v_add_co_ci_u32_e32 v5, vcc_lo, 0, v3, vcc_lo
	s_delay_alu instid0(VALU_DEP_2) | instskip(SKIP_1) | instid1(VALU_DEP_3)
	v_mul_lo_u32 v6, s11, v0
	v_mad_u64_u32 v[3:4], null, s10, v0, 0
	v_mul_lo_u32 v7, s10, v5
	s_delay_alu instid0(VALU_DEP_2) | instskip(NEXT) | instid1(VALU_DEP_2)
	v_sub_co_u32 v3, vcc_lo, v10, v3
	v_add3_u32 v4, v4, v7, v6
	s_delay_alu instid0(VALU_DEP_1) | instskip(NEXT) | instid1(VALU_DEP_1)
	v_sub_nc_u32_e32 v6, v12, v4
	v_subrev_co_ci_u32_e64 v6, s2, s11, v6, vcc_lo
	v_add_co_u32 v7, s2, v0, 2
	s_delay_alu instid0(VALU_DEP_1) | instskip(SKIP_3) | instid1(VALU_DEP_3)
	v_add_co_ci_u32_e64 v8, s2, 0, v5, s2
	v_sub_co_u32 v10, s2, v3, s10
	v_sub_co_ci_u32_e32 v4, vcc_lo, v12, v4, vcc_lo
	v_subrev_co_ci_u32_e64 v6, s2, 0, v6, s2
	v_cmp_le_u32_e32 vcc_lo, s10, v10
	s_delay_alu instid0(VALU_DEP_3) | instskip(SKIP_1) | instid1(VALU_DEP_4)
	v_cmp_eq_u32_e64 s2, s11, v4
	v_cndmask_b32_e64 v10, 0, -1, vcc_lo
	v_cmp_le_u32_e32 vcc_lo, s11, v6
	v_cndmask_b32_e64 v11, 0, -1, vcc_lo
	v_cmp_le_u32_e32 vcc_lo, s10, v3
	;; [unrolled: 2-line block ×3, first 2 shown]
	v_cndmask_b32_e64 v12, 0, -1, vcc_lo
	v_cmp_eq_u32_e32 vcc_lo, s11, v6
	s_delay_alu instid0(VALU_DEP_2) | instskip(SKIP_3) | instid1(VALU_DEP_3)
	v_cndmask_b32_e64 v3, v12, v3, s2
	v_cndmask_b32_e32 v6, v11, v10, vcc_lo
	v_add_co_u32 v10, vcc_lo, v0, 1
	v_add_co_ci_u32_e32 v11, vcc_lo, 0, v5, vcc_lo
	v_cmp_ne_u32_e32 vcc_lo, 0, v6
	s_delay_alu instid0(VALU_DEP_2) | instskip(NEXT) | instid1(VALU_DEP_4)
	v_cndmask_b32_e32 v4, v11, v8, vcc_lo
	v_cndmask_b32_e32 v6, v10, v7, vcc_lo
	v_cmp_ne_u32_e32 vcc_lo, 0, v3
	v_xor_b32_e32 v7, s4, v9
	s_delay_alu instid0(VALU_DEP_3) | instskip(NEXT) | instid1(VALU_DEP_1)
	v_dual_cndmask_b32 v0, v0, v6 :: v_dual_cndmask_b32 v3, v5, v4
	v_xor_b32_e32 v0, v0, v7
	s_delay_alu instid0(VALU_DEP_2) | instskip(NEXT) | instid1(VALU_DEP_2)
	v_xor_b32_e32 v4, v3, v7
	v_sub_co_u32 v3, vcc_lo, v0, v7
	s_delay_alu instid0(VALU_DEP_2)
	v_sub_co_ci_u32_e32 v4, vcc_lo, v4, v7, vcc_lo
.LBB42_3:
	s_and_not1_saveexec_b32 s2, s13
	s_cbranch_execz .LBB42_5
; %bb.4:
	v_cvt_f32_u32_e32 v0, s8
	s_sub_i32 s4, 0, s8
	s_delay_alu instid0(VALU_DEP_1) | instskip(SKIP_2) | instid1(VALU_DEP_1)
	v_rcp_iflag_f32_e32 v0, v0
	s_waitcnt_depctr 0xfff
	v_mul_f32_e32 v0, 0x4f7ffffe, v0
	v_cvt_u32_f32_e32 v0, v0
	s_delay_alu instid0(VALU_DEP_1) | instskip(NEXT) | instid1(VALU_DEP_1)
	v_mul_lo_u32 v3, s4, v0
	v_mul_hi_u32 v3, v0, v3
	s_delay_alu instid0(VALU_DEP_1) | instskip(NEXT) | instid1(VALU_DEP_1)
	v_add_nc_u32_e32 v0, v0, v3
	v_mul_hi_u32 v0, v1, v0
	s_delay_alu instid0(VALU_DEP_1) | instskip(SKIP_1) | instid1(VALU_DEP_2)
	v_mul_lo_u32 v3, v0, s8
	v_add_nc_u32_e32 v4, 1, v0
	v_sub_nc_u32_e32 v3, v1, v3
	s_delay_alu instid0(VALU_DEP_1) | instskip(SKIP_1) | instid1(VALU_DEP_2)
	v_subrev_nc_u32_e32 v5, s8, v3
	v_cmp_le_u32_e32 vcc_lo, s8, v3
	v_dual_cndmask_b32 v3, v3, v5 :: v_dual_cndmask_b32 v0, v0, v4
	s_delay_alu instid0(VALU_DEP_1) | instskip(NEXT) | instid1(VALU_DEP_2)
	v_cmp_le_u32_e32 vcc_lo, s8, v3
	v_add_nc_u32_e32 v4, 1, v0
	s_delay_alu instid0(VALU_DEP_1)
	v_dual_cndmask_b32 v3, v0, v4 :: v_dual_mov_b32 v4, 0
.LBB42_5:
	s_or_b32 exec_lo, exec_lo, s2
	s_delay_alu instid0(VALU_DEP_1) | instskip(SKIP_1) | instid1(VALU_DEP_1)
	v_or_b32_e32 v6, s7, v4
	v_mov_b32_e32 v5, 0
	v_cmp_ne_u64_e32 vcc_lo, 0, v[5:6]
                                        ; implicit-def: $vgpr5_vgpr6
	s_and_saveexec_b32 s2, vcc_lo
	s_delay_alu instid0(SALU_CYCLE_1)
	s_xor_b32 s10, exec_lo, s2
	s_cbranch_execz .LBB42_7
; %bb.6:
	s_ashr_i32 s4, s7, 31
	s_delay_alu instid0(SALU_CYCLE_1) | instskip(SKIP_2) | instid1(SALU_CYCLE_1)
	s_add_u32 s16, s6, s4
	s_mov_b32 s5, s4
	s_addc_u32 s17, s7, s4
	s_xor_b64 s[4:5], s[16:17], s[4:5]
	s_delay_alu instid0(SALU_CYCLE_1) | instskip(SKIP_3) | instid1(VALU_DEP_1)
	v_cvt_f32_u32_e32 v0, s4
	v_cvt_f32_u32_e32 v5, s5
	s_sub_u32 s2, 0, s4
	s_subb_u32 s7, 0, s5
	v_fmamk_f32 v0, v5, 0x4f800000, v0
	s_delay_alu instid0(VALU_DEP_1) | instskip(SKIP_2) | instid1(VALU_DEP_1)
	v_rcp_f32_e32 v0, v0
	s_waitcnt_depctr 0xfff
	v_mul_f32_e32 v0, 0x5f7ffffc, v0
	v_mul_f32_e32 v5, 0x2f800000, v0
	s_delay_alu instid0(VALU_DEP_1) | instskip(NEXT) | instid1(VALU_DEP_1)
	v_trunc_f32_e32 v5, v5
	v_fmamk_f32 v0, v5, 0xcf800000, v0
	v_cvt_u32_f32_e32 v5, v5
	s_delay_alu instid0(VALU_DEP_2) | instskip(NEXT) | instid1(VALU_DEP_2)
	v_cvt_u32_f32_e32 v0, v0
	v_mul_lo_u32 v6, s2, v5
	s_delay_alu instid0(VALU_DEP_2) | instskip(SKIP_1) | instid1(VALU_DEP_2)
	v_mul_hi_u32 v7, s2, v0
	v_mul_lo_u32 v8, s7, v0
	v_add_nc_u32_e32 v6, v7, v6
	v_mul_lo_u32 v7, s2, v0
	s_delay_alu instid0(VALU_DEP_2) | instskip(NEXT) | instid1(VALU_DEP_2)
	v_add_nc_u32_e32 v6, v6, v8
	v_mul_hi_u32 v8, v0, v7
	s_delay_alu instid0(VALU_DEP_2)
	v_mul_lo_u32 v9, v0, v6
	v_mul_hi_u32 v10, v0, v6
	v_mul_hi_u32 v11, v5, v7
	v_mul_lo_u32 v7, v5, v7
	v_mul_hi_u32 v12, v5, v6
	v_mul_lo_u32 v6, v5, v6
	v_add_co_u32 v8, vcc_lo, v8, v9
	v_add_co_ci_u32_e32 v9, vcc_lo, 0, v10, vcc_lo
	s_delay_alu instid0(VALU_DEP_2) | instskip(NEXT) | instid1(VALU_DEP_2)
	v_add_co_u32 v7, vcc_lo, v8, v7
	v_add_co_ci_u32_e32 v7, vcc_lo, v9, v11, vcc_lo
	v_add_co_ci_u32_e32 v8, vcc_lo, 0, v12, vcc_lo
	v_ashrrev_i32_e32 v11, 31, v4
	s_delay_alu instid0(VALU_DEP_3) | instskip(NEXT) | instid1(VALU_DEP_3)
	v_add_co_u32 v6, vcc_lo, v7, v6
	v_add_co_ci_u32_e32 v7, vcc_lo, 0, v8, vcc_lo
	s_delay_alu instid0(VALU_DEP_2) | instskip(NEXT) | instid1(VALU_DEP_2)
	v_add_co_u32 v0, vcc_lo, v0, v6
	v_add_co_ci_u32_e32 v5, vcc_lo, v5, v7, vcc_lo
	s_delay_alu instid0(VALU_DEP_2) | instskip(SKIP_1) | instid1(VALU_DEP_3)
	v_mul_hi_u32 v6, s2, v0
	v_mul_lo_u32 v8, s7, v0
	v_mul_lo_u32 v7, s2, v5
	s_delay_alu instid0(VALU_DEP_1) | instskip(SKIP_1) | instid1(VALU_DEP_2)
	v_add_nc_u32_e32 v6, v6, v7
	v_mul_lo_u32 v7, s2, v0
	v_add_nc_u32_e32 v6, v6, v8
	s_delay_alu instid0(VALU_DEP_2) | instskip(NEXT) | instid1(VALU_DEP_2)
	v_mul_hi_u32 v8, v0, v7
	v_mul_lo_u32 v9, v0, v6
	v_mul_hi_u32 v10, v0, v6
	v_mul_hi_u32 v12, v5, v7
	v_mul_lo_u32 v7, v5, v7
	v_mul_hi_u32 v13, v5, v6
	v_mul_lo_u32 v6, v5, v6
	v_add_co_u32 v8, vcc_lo, v8, v9
	v_add_co_ci_u32_e32 v9, vcc_lo, 0, v10, vcc_lo
	s_delay_alu instid0(VALU_DEP_2) | instskip(NEXT) | instid1(VALU_DEP_2)
	v_add_co_u32 v7, vcc_lo, v8, v7
	v_add_co_ci_u32_e32 v7, vcc_lo, v9, v12, vcc_lo
	v_add_co_ci_u32_e32 v8, vcc_lo, 0, v13, vcc_lo
	v_add_co_u32 v9, vcc_lo, v3, v11
	v_add_co_ci_u32_e32 v10, vcc_lo, v4, v11, vcc_lo
	s_delay_alu instid0(VALU_DEP_4) | instskip(NEXT) | instid1(VALU_DEP_4)
	v_add_co_u32 v6, vcc_lo, v7, v6
	v_add_co_ci_u32_e32 v7, vcc_lo, 0, v8, vcc_lo
	s_delay_alu instid0(VALU_DEP_4) | instskip(NEXT) | instid1(VALU_DEP_3)
	v_xor_b32_e32 v12, v9, v11
	v_add_co_u32 v0, vcc_lo, v0, v6
	s_delay_alu instid0(VALU_DEP_3) | instskip(SKIP_1) | instid1(VALU_DEP_3)
	v_add_co_ci_u32_e32 v13, vcc_lo, v5, v7, vcc_lo
	v_xor_b32_e32 v14, v10, v11
	v_mul_hi_u32 v15, v12, v0
	s_delay_alu instid0(VALU_DEP_3) | instskip(NEXT) | instid1(VALU_DEP_3)
	v_mad_u64_u32 v[5:6], null, v12, v13, 0
	v_mad_u64_u32 v[7:8], null, v14, v0, 0
	;; [unrolled: 1-line block ×3, first 2 shown]
	s_delay_alu instid0(VALU_DEP_3) | instskip(NEXT) | instid1(VALU_DEP_4)
	v_add_co_u32 v0, vcc_lo, v15, v5
	v_add_co_ci_u32_e32 v5, vcc_lo, 0, v6, vcc_lo
	s_delay_alu instid0(VALU_DEP_2) | instskip(NEXT) | instid1(VALU_DEP_2)
	v_add_co_u32 v0, vcc_lo, v0, v7
	v_add_co_ci_u32_e32 v0, vcc_lo, v5, v8, vcc_lo
	v_add_co_ci_u32_e32 v5, vcc_lo, 0, v10, vcc_lo
	s_delay_alu instid0(VALU_DEP_2) | instskip(NEXT) | instid1(VALU_DEP_2)
	v_add_co_u32 v0, vcc_lo, v0, v9
	v_add_co_ci_u32_e32 v7, vcc_lo, 0, v5, vcc_lo
	s_delay_alu instid0(VALU_DEP_2) | instskip(SKIP_1) | instid1(VALU_DEP_3)
	v_mul_lo_u32 v8, s5, v0
	v_mad_u64_u32 v[5:6], null, s4, v0, 0
	v_mul_lo_u32 v0, s4, v7
	s_delay_alu instid0(VALU_DEP_2) | instskip(NEXT) | instid1(VALU_DEP_2)
	v_sub_co_u32 v5, vcc_lo, v12, v5
	v_add3_u32 v0, v6, v0, v8
	s_delay_alu instid0(VALU_DEP_1) | instskip(NEXT) | instid1(VALU_DEP_1)
	v_sub_nc_u32_e32 v6, v14, v0
	v_subrev_co_ci_u32_e64 v6, s2, s5, v6, vcc_lo
	s_delay_alu instid0(VALU_DEP_4) | instskip(SKIP_1) | instid1(VALU_DEP_3)
	v_sub_co_u32 v7, s2, v5, s4
	v_sub_co_ci_u32_e32 v0, vcc_lo, v14, v0, vcc_lo
	v_subrev_co_ci_u32_e64 v6, s2, 0, v6, s2
	s_delay_alu instid0(VALU_DEP_3) | instskip(SKIP_1) | instid1(VALU_DEP_3)
	v_cmp_le_u32_e32 vcc_lo, s4, v7
	v_cndmask_b32_e64 v8, 0, -1, vcc_lo
	v_cmp_le_u32_e32 vcc_lo, s5, v6
	v_cndmask_b32_e64 v9, 0, -1, vcc_lo
	;; [unrolled: 2-line block ×4, first 2 shown]
	v_cmp_eq_u32_e32 vcc_lo, s5, v6
	v_cndmask_b32_e32 v6, v9, v8, vcc_lo
	v_sub_co_u32 v8, vcc_lo, v7, s4
	v_cmp_eq_u32_e32 vcc_lo, s5, v0
	v_cndmask_b32_e32 v0, v12, v10, vcc_lo
	s_delay_alu instid0(VALU_DEP_4) | instskip(NEXT) | instid1(VALU_DEP_4)
	v_cmp_ne_u32_e32 vcc_lo, 0, v6
	v_cndmask_b32_e32 v6, v7, v8, vcc_lo
	s_delay_alu instid0(VALU_DEP_3) | instskip(NEXT) | instid1(VALU_DEP_2)
	v_cmp_ne_u32_e32 vcc_lo, 0, v0
	v_cndmask_b32_e32 v0, v5, v6, vcc_lo
	s_delay_alu instid0(VALU_DEP_1) | instskip(NEXT) | instid1(VALU_DEP_1)
	v_xor_b32_e32 v0, v0, v11
	v_sub_co_u32 v5, vcc_lo, v0, v11
.LBB42_7:
	s_and_not1_saveexec_b32 s2, s10
	s_cbranch_execz .LBB42_9
; %bb.8:
	v_cvt_f32_u32_e32 v0, s6
	s_sub_i32 s4, 0, s6
	s_delay_alu instid0(VALU_DEP_1) | instskip(SKIP_2) | instid1(VALU_DEP_1)
	v_rcp_iflag_f32_e32 v0, v0
	s_waitcnt_depctr 0xfff
	v_mul_f32_e32 v0, 0x4f7ffffe, v0
	v_cvt_u32_f32_e32 v0, v0
	s_delay_alu instid0(VALU_DEP_1) | instskip(NEXT) | instid1(VALU_DEP_1)
	v_mul_lo_u32 v5, s4, v0
	v_mul_hi_u32 v5, v0, v5
	s_delay_alu instid0(VALU_DEP_1) | instskip(NEXT) | instid1(VALU_DEP_1)
	v_add_nc_u32_e32 v0, v0, v5
	v_mul_hi_u32 v0, v3, v0
	s_delay_alu instid0(VALU_DEP_1) | instskip(NEXT) | instid1(VALU_DEP_1)
	v_mul_lo_u32 v0, v0, s6
	v_sub_nc_u32_e32 v0, v3, v0
	s_delay_alu instid0(VALU_DEP_1) | instskip(SKIP_1) | instid1(VALU_DEP_2)
	v_subrev_nc_u32_e32 v5, s6, v0
	v_cmp_le_u32_e32 vcc_lo, s6, v0
	v_cndmask_b32_e32 v0, v0, v5, vcc_lo
	s_delay_alu instid0(VALU_DEP_1) | instskip(SKIP_1) | instid1(VALU_DEP_2)
	v_subrev_nc_u32_e32 v5, s6, v0
	v_cmp_le_u32_e32 vcc_lo, s6, v0
	v_cndmask_b32_e32 v5, v0, v5, vcc_lo
.LBB42_9:
	s_or_b32 exec_lo, exec_lo, s2
	v_or_b32_e32 v7, s12, v2
	v_mov_b32_e32 v6, 0
	s_delay_alu instid0(VALU_DEP_1) | instskip(SKIP_1) | instid1(SALU_CYCLE_1)
	v_cmp_ne_u64_e32 vcc_lo, 0, v[6:7]
                                        ; implicit-def: $vgpr6_vgpr7
	s_and_saveexec_b32 s2, vcc_lo
	s_xor_b32 s10, exec_lo, s2
	s_cbranch_execz .LBB42_11
; %bb.10:
	s_ashr_i32 s4, s12, 31
	s_delay_alu instid0(SALU_CYCLE_1) | instskip(SKIP_2) | instid1(SALU_CYCLE_1)
	s_add_u32 s6, s3, s4
	s_mov_b32 s5, s4
	s_addc_u32 s7, s12, s4
	s_xor_b64 s[6:7], s[6:7], s[4:5]
	s_delay_alu instid0(SALU_CYCLE_1) | instskip(SKIP_3) | instid1(VALU_DEP_1)
	v_cvt_f32_u32_e32 v0, s6
	v_cvt_f32_u32_e32 v6, s7
	s_sub_u32 s2, 0, s6
	s_subb_u32 s5, 0, s7
	v_fmamk_f32 v0, v6, 0x4f800000, v0
	s_delay_alu instid0(VALU_DEP_1) | instskip(SKIP_2) | instid1(VALU_DEP_1)
	v_rcp_f32_e32 v0, v0
	s_waitcnt_depctr 0xfff
	v_mul_f32_e32 v0, 0x5f7ffffc, v0
	v_mul_f32_e32 v6, 0x2f800000, v0
	s_delay_alu instid0(VALU_DEP_1) | instskip(NEXT) | instid1(VALU_DEP_1)
	v_trunc_f32_e32 v6, v6
	v_fmamk_f32 v0, v6, 0xcf800000, v0
	v_cvt_u32_f32_e32 v6, v6
	s_delay_alu instid0(VALU_DEP_2) | instskip(NEXT) | instid1(VALU_DEP_2)
	v_cvt_u32_f32_e32 v0, v0
	v_mul_lo_u32 v7, s2, v6
	s_delay_alu instid0(VALU_DEP_2) | instskip(SKIP_1) | instid1(VALU_DEP_2)
	v_mul_hi_u32 v8, s2, v0
	v_mul_lo_u32 v9, s5, v0
	v_add_nc_u32_e32 v7, v8, v7
	v_mul_lo_u32 v8, s2, v0
	s_delay_alu instid0(VALU_DEP_2) | instskip(NEXT) | instid1(VALU_DEP_2)
	v_add_nc_u32_e32 v7, v7, v9
	v_mul_hi_u32 v9, v0, v8
	s_delay_alu instid0(VALU_DEP_2)
	v_mul_lo_u32 v10, v0, v7
	v_mul_hi_u32 v11, v0, v7
	v_mul_hi_u32 v12, v6, v8
	v_mul_lo_u32 v8, v6, v8
	v_mul_hi_u32 v13, v6, v7
	v_mul_lo_u32 v7, v6, v7
	v_add_co_u32 v9, vcc_lo, v9, v10
	v_add_co_ci_u32_e32 v10, vcc_lo, 0, v11, vcc_lo
	s_delay_alu instid0(VALU_DEP_2) | instskip(NEXT) | instid1(VALU_DEP_2)
	v_add_co_u32 v8, vcc_lo, v9, v8
	v_add_co_ci_u32_e32 v8, vcc_lo, v10, v12, vcc_lo
	v_add_co_ci_u32_e32 v9, vcc_lo, 0, v13, vcc_lo
	v_mov_b32_e32 v12, v2
	s_delay_alu instid0(VALU_DEP_3) | instskip(NEXT) | instid1(VALU_DEP_3)
	v_add_co_u32 v7, vcc_lo, v8, v7
	v_add_co_ci_u32_e32 v8, vcc_lo, 0, v9, vcc_lo
	v_mov_b32_e32 v13, v2
	s_delay_alu instid0(VALU_DEP_3) | instskip(NEXT) | instid1(VALU_DEP_3)
	v_add_co_u32 v0, vcc_lo, v0, v7
	v_add_co_ci_u32_e32 v6, vcc_lo, v6, v8, vcc_lo
	s_delay_alu instid0(VALU_DEP_2) | instskip(SKIP_1) | instid1(VALU_DEP_3)
	v_mul_hi_u32 v7, s2, v0
	v_mul_lo_u32 v9, s5, v0
	v_mul_lo_u32 v8, s2, v6
	s_delay_alu instid0(VALU_DEP_1) | instskip(SKIP_1) | instid1(VALU_DEP_2)
	v_add_nc_u32_e32 v7, v7, v8
	v_mul_lo_u32 v8, s2, v0
	v_add_nc_u32_e32 v7, v7, v9
	s_delay_alu instid0(VALU_DEP_2) | instskip(NEXT) | instid1(VALU_DEP_2)
	v_mul_hi_u32 v9, v0, v8
	v_mul_lo_u32 v10, v0, v7
	v_mul_hi_u32 v11, v0, v7
	v_mul_hi_u32 v14, v6, v8
	v_mul_lo_u32 v8, v6, v8
	v_mul_hi_u32 v15, v6, v7
	v_mul_lo_u32 v7, v6, v7
	v_add_co_u32 v9, vcc_lo, v9, v10
	v_add_co_ci_u32_e32 v10, vcc_lo, 0, v11, vcc_lo
	s_delay_alu instid0(VALU_DEP_2) | instskip(NEXT) | instid1(VALU_DEP_2)
	v_add_co_u32 v8, vcc_lo, v9, v8
	v_add_co_ci_u32_e32 v8, vcc_lo, v10, v14, vcc_lo
	v_add_co_ci_u32_e32 v9, vcc_lo, 0, v15, vcc_lo
	v_add_co_u32 v10, vcc_lo, v1, v12
	v_add_co_ci_u32_e32 v11, vcc_lo, v2, v13, vcc_lo
	s_delay_alu instid0(VALU_DEP_4) | instskip(NEXT) | instid1(VALU_DEP_4)
	v_add_co_u32 v7, vcc_lo, v8, v7
	v_add_co_ci_u32_e32 v8, vcc_lo, 0, v9, vcc_lo
	s_delay_alu instid0(VALU_DEP_4) | instskip(NEXT) | instid1(VALU_DEP_3)
	v_xor_b32_e32 v14, v10, v12
	v_add_co_u32 v0, vcc_lo, v0, v7
	s_delay_alu instid0(VALU_DEP_3) | instskip(SKIP_1) | instid1(VALU_DEP_3)
	v_add_co_ci_u32_e32 v15, vcc_lo, v6, v8, vcc_lo
	v_xor_b32_e32 v13, v11, v13
	v_mul_hi_u32 v16, v14, v0
	s_delay_alu instid0(VALU_DEP_3) | instskip(NEXT) | instid1(VALU_DEP_3)
	v_mad_u64_u32 v[6:7], null, v14, v15, 0
	v_mad_u64_u32 v[8:9], null, v13, v0, 0
	;; [unrolled: 1-line block ×3, first 2 shown]
	s_delay_alu instid0(VALU_DEP_3) | instskip(NEXT) | instid1(VALU_DEP_4)
	v_add_co_u32 v0, vcc_lo, v16, v6
	v_add_co_ci_u32_e32 v6, vcc_lo, 0, v7, vcc_lo
	s_delay_alu instid0(VALU_DEP_2) | instskip(NEXT) | instid1(VALU_DEP_2)
	v_add_co_u32 v0, vcc_lo, v0, v8
	v_add_co_ci_u32_e32 v0, vcc_lo, v6, v9, vcc_lo
	v_add_co_ci_u32_e32 v6, vcc_lo, 0, v11, vcc_lo
	s_delay_alu instid0(VALU_DEP_2) | instskip(NEXT) | instid1(VALU_DEP_2)
	v_add_co_u32 v0, vcc_lo, v0, v10
	v_add_co_ci_u32_e32 v8, vcc_lo, 0, v6, vcc_lo
	s_delay_alu instid0(VALU_DEP_2) | instskip(SKIP_1) | instid1(VALU_DEP_3)
	v_mul_lo_u32 v9, s7, v0
	v_mad_u64_u32 v[6:7], null, s6, v0, 0
	v_mul_lo_u32 v8, s6, v8
	s_delay_alu instid0(VALU_DEP_2) | instskip(NEXT) | instid1(VALU_DEP_2)
	v_sub_co_u32 v6, vcc_lo, v14, v6
	v_add3_u32 v7, v7, v8, v9
	v_add_co_u32 v9, s2, v0, 2
	s_delay_alu instid0(VALU_DEP_2) | instskip(NEXT) | instid1(VALU_DEP_1)
	v_sub_nc_u32_e32 v8, v13, v7
	v_subrev_co_ci_u32_e64 v8, s2, s7, v8, vcc_lo
	v_sub_co_u32 v10, s2, v6, s6
	v_sub_co_ci_u32_e32 v7, vcc_lo, v13, v7, vcc_lo
	s_delay_alu instid0(VALU_DEP_3) | instskip(NEXT) | instid1(VALU_DEP_3)
	v_subrev_co_ci_u32_e64 v8, s2, 0, v8, s2
	v_cmp_le_u32_e32 vcc_lo, s6, v10
	v_cndmask_b32_e64 v10, 0, -1, vcc_lo
	s_delay_alu instid0(VALU_DEP_3)
	v_cmp_le_u32_e32 vcc_lo, s7, v8
	v_cndmask_b32_e64 v11, 0, -1, vcc_lo
	v_cmp_le_u32_e32 vcc_lo, s6, v6
	v_cndmask_b32_e64 v6, 0, -1, vcc_lo
	;; [unrolled: 2-line block ×3, first 2 shown]
	v_cmp_eq_u32_e32 vcc_lo, s7, v8
	v_cndmask_b32_e32 v8, v11, v10, vcc_lo
	v_add_co_u32 v10, vcc_lo, v0, 1
	v_cmp_eq_u32_e32 vcc_lo, s7, v7
	v_cndmask_b32_e32 v6, v13, v6, vcc_lo
	s_delay_alu instid0(VALU_DEP_4) | instskip(NEXT) | instid1(VALU_DEP_4)
	v_cmp_ne_u32_e32 vcc_lo, 0, v8
	v_cndmask_b32_e32 v7, v10, v9, vcc_lo
	s_delay_alu instid0(VALU_DEP_3) | instskip(SKIP_1) | instid1(VALU_DEP_3)
	v_cmp_ne_u32_e32 vcc_lo, 0, v6
	v_xor_b32_e32 v6, s4, v12
	v_cndmask_b32_e32 v0, v0, v7, vcc_lo
	s_delay_alu instid0(VALU_DEP_1) | instskip(NEXT) | instid1(VALU_DEP_1)
	v_xor_b32_e32 v0, v0, v6
	v_sub_co_u32 v6, vcc_lo, v0, v6
.LBB42_11:
	s_and_not1_saveexec_b32 s2, s10
	s_cbranch_execz .LBB42_13
; %bb.12:
	v_cvt_f32_u32_e32 v0, s3
	s_sub_i32 s4, 0, s3
	s_delay_alu instid0(VALU_DEP_1) | instskip(SKIP_2) | instid1(VALU_DEP_1)
	v_rcp_iflag_f32_e32 v0, v0
	s_waitcnt_depctr 0xfff
	v_mul_f32_e32 v0, 0x4f7ffffe, v0
	v_cvt_u32_f32_e32 v0, v0
	s_delay_alu instid0(VALU_DEP_1) | instskip(NEXT) | instid1(VALU_DEP_1)
	v_mul_lo_u32 v6, s4, v0
	v_mul_hi_u32 v6, v0, v6
	s_delay_alu instid0(VALU_DEP_1) | instskip(NEXT) | instid1(VALU_DEP_1)
	v_add_nc_u32_e32 v0, v0, v6
	v_mul_hi_u32 v0, v1, v0
	s_delay_alu instid0(VALU_DEP_1) | instskip(SKIP_1) | instid1(VALU_DEP_2)
	v_mul_lo_u32 v6, v0, s3
	v_add_nc_u32_e32 v7, 1, v0
	v_sub_nc_u32_e32 v6, v1, v6
	s_delay_alu instid0(VALU_DEP_1) | instskip(SKIP_1) | instid1(VALU_DEP_2)
	v_subrev_nc_u32_e32 v8, s3, v6
	v_cmp_le_u32_e32 vcc_lo, s3, v6
	v_cndmask_b32_e32 v6, v6, v8, vcc_lo
	v_cndmask_b32_e32 v0, v0, v7, vcc_lo
	s_delay_alu instid0(VALU_DEP_2) | instskip(NEXT) | instid1(VALU_DEP_2)
	v_cmp_le_u32_e32 vcc_lo, s3, v6
	v_add_nc_u32_e32 v7, 1, v0
	s_delay_alu instid0(VALU_DEP_1)
	v_cndmask_b32_e32 v6, v0, v7, vcc_lo
.LBB42_13:
	s_or_b32 exec_lo, exec_lo, s2
	s_clause 0x2
	s_load_b32 s10, s[0:1], 0xc0
	s_load_b128 s[4:7], s[0:1], 0xb0
	s_load_b512 s[16:31], s[0:1], 0x18
	v_mul_lo_u32 v0, v4, s8
	v_mul_lo_u32 v4, v3, s9
	v_mad_u64_u32 v[7:8], null, v3, s8, 0
	s_load_b64 s[2:3], s[0:1], 0xa8
	s_delay_alu instid0(VALU_DEP_1) | instskip(NEXT) | instid1(VALU_DEP_2)
	v_add3_u32 v0, v8, v4, v0
	v_sub_co_u32 v9, vcc_lo, v1, v7
	s_delay_alu instid0(VALU_DEP_2)
	v_sub_co_ci_u32_e32 v4, vcc_lo, v2, v0, vcc_lo
	s_waitcnt lgkmcnt(0)
	s_add_i32 s15, s15, s10
	s_add_i32 s14, s14, s7
	;; [unrolled: 1-line block ×3, first 2 shown]
	s_sub_i32 s7, 0, s6
	s_add_i32 s18, s18, -1
	s_sub_i32 s8, 0, s5
	s_add_i32 s19, s6, s20
	s_max_i32 s11, s5, 0
	v_maxmin_i32 v1, s5, v5, s18
	s_add_i32 s5, s4, s16
	s_max_i32 s10, s6, 0
	s_max_i32 s7, s7, 0
	;; [unrolled: 1-line block ×3, first 2 shown]
	s_add_i32 s19, s19, -1
	s_add_i32 s5, s5, -1
	s_sub_i32 s9, 0, s4
	v_maxmin_i32 v0, s6, v9, s19
	s_sub_i32 s6, s7, s10
	s_sub_i32 s7, s12, s11
	s_ashr_i32 s12, s15, 31
	v_maxmin_i32 v2, s4, v6, s5
	s_max_i32 s13, s9, 0
	s_max_i32 s17, s4, 0
	s_load_b64 s[8:9], s[0:1], 0x0
	s_mul_i32 s10, s22, s12
	s_mul_hi_u32 s11, s22, s15
	v_add_nc_u32_e32 v7, s7, v1
	s_add_i32 s4, s11, s10
	s_sub_i32 s10, s13, s17
	s_mul_i32 s5, s23, s15
	v_add_nc_u32_e32 v2, s10, v2
	v_add_nc_u32_e32 v10, s6, v0
	v_ashrrev_i32_e32 v3, 31, v7
	s_add_i32 s5, s4, s5
	s_mul_i32 s4, s22, s15
	v_ashrrev_i32_e32 v1, 31, v2
	v_mul_lo_u32 v11, s27, v2
	s_lshl_b64 s[4:5], s[4:5], 2
	v_mul_lo_u32 v12, s28, v3
	v_mul_lo_u32 v13, s29, v7
	;; [unrolled: 1-line block ×3, first 2 shown]
	v_mad_u64_u32 v[0:1], null, s26, v2, 0
	v_ashrrev_i32_e32 v14, 31, v10
	v_mad_u64_u32 v[2:3], null, s28, v7, 0
	s_waitcnt lgkmcnt(0)
	s_add_u32 s7, s8, s4
	s_addc_u32 s8, s9, s5
	s_ashr_i32 s13, s14, 31
	s_delay_alu instid0(VALU_DEP_3)
	v_add3_u32 v1, v1, v8, v11
	s_mul_i32 s4, s24, s13
	s_mul_hi_u32 s5, s24, s14
	v_mul_lo_u32 v11, s30, v14
	v_mul_lo_u32 v14, s31, v10
	v_mad_u64_u32 v[7:8], null, s30, v10, 0
	s_add_i32 s4, s5, s4
	s_mul_i32 s5, s25, s14
	v_add3_u32 v3, v3, v12, v13
	s_add_i32 s5, s4, s5
	s_mul_i32 s4, s24, s14
	v_lshlrev_b64 v[0:1], 2, v[0:1]
	s_lshl_b64 s[4:5], s[4:5], 2
	v_lshlrev_b64 v[2:3], 2, v[2:3]
	s_add_u32 s4, s7, s4
	v_add3_u32 v8, v8, v11, v14
	s_addc_u32 s5, s8, s5
	v_add_co_u32 v10, vcc_lo, s4, v0
	v_add_co_ci_u32_e32 v11, vcc_lo, s5, v1, vcc_lo
	s_delay_alu instid0(VALU_DEP_3) | instskip(NEXT) | instid1(VALU_DEP_3)
	v_lshlrev_b64 v[0:1], 2, v[7:8]
	v_add_co_u32 v2, vcc_lo, v10, v2
	s_delay_alu instid0(VALU_DEP_3) | instskip(NEXT) | instid1(VALU_DEP_2)
	v_add_co_ci_u32_e32 v3, vcc_lo, v11, v3, vcc_lo
	v_add_co_u32 v0, vcc_lo, v2, v0
	s_delay_alu instid0(VALU_DEP_2)
	v_add_co_ci_u32_e32 v1, vcc_lo, v3, v1, vcc_lo
	v_ashrrev_i32_e32 v2, 31, v5
	global_load_b32 v7, v[0:1], off
	s_clause 0x1
	s_load_b256 s[4:11], s[0:1], 0x88
	s_load_b64 s[0:1], s[0:1], 0x58
	v_ashrrev_i32_e32 v0, 31, v6
	s_waitcnt lgkmcnt(0)
	s_mul_i32 s12, s4, s12
	s_mul_hi_u32 s16, s4, s15
	v_mul_lo_u32 v8, s9, v6
	v_mul_lo_u32 v10, s8, v0
	v_mad_u64_u32 v[0:1], null, s8, v6, 0
	s_add_i32 s12, s16, s12
	s_mul_i32 s5, s5, s15
	s_mul_i32 s4, s4, s15
	s_add_i32 s5, s12, s5
	v_mul_lo_u32 v6, s11, v5
	v_mul_lo_u32 v11, s10, v2
	v_mad_u64_u32 v[2:3], null, s10, v5, 0
	s_lshl_b64 s[4:5], s[4:5], 2
	v_add3_u32 v1, v1, v10, v8
	s_add_u32 s4, s0, s4
	s_addc_u32 s5, s1, s5
	s_mul_i32 s0, s6, s13
	s_mul_hi_u32 s1, s6, s14
	v_mul_lo_u32 v8, s3, v9
	v_mul_lo_u32 v10, s2, v4
	v_mad_u64_u32 v[4:5], null, s2, v9, 0
	s_add_i32 s0, s1, s0
	s_mul_i32 s1, s7, s14
	v_add3_u32 v3, v3, v11, v6
	s_add_i32 s1, s0, s1
	s_mul_i32 s0, s6, s14
	v_lshlrev_b64 v[0:1], 2, v[0:1]
	s_lshl_b64 s[0:1], s[0:1], 2
	v_lshlrev_b64 v[2:3], 2, v[2:3]
	s_add_u32 s0, s4, s0
	v_add3_u32 v5, v5, v10, v8
	s_addc_u32 s1, s5, s1
	v_add_co_u32 v6, vcc_lo, s0, v0
	v_add_co_ci_u32_e32 v8, vcc_lo, s1, v1, vcc_lo
	s_delay_alu instid0(VALU_DEP_3) | instskip(NEXT) | instid1(VALU_DEP_3)
	v_lshlrev_b64 v[0:1], 2, v[4:5]
	v_add_co_u32 v2, vcc_lo, v6, v2
	s_delay_alu instid0(VALU_DEP_3) | instskip(NEXT) | instid1(VALU_DEP_2)
	v_add_co_ci_u32_e32 v3, vcc_lo, v8, v3, vcc_lo
	v_add_co_u32 v0, vcc_lo, v2, v0
	s_delay_alu instid0(VALU_DEP_2)
	v_add_co_ci_u32_e32 v1, vcc_lo, v3, v1, vcc_lo
	s_waitcnt vmcnt(0)
	global_store_b32 v[0:1], v7, off
.LBB42_14:
	s_nop 0
	s_sendmsg sendmsg(MSG_DEALLOC_VGPRS)
	s_endpgm
	.section	.rodata,"a",@progbits
	.p2align	6, 0x0
	.amdhsa_kernel _ZN2at6native12_GLOBAL__N_132replication_pad_forward_kernel3dIiEEvN5torch10headeronly6detail27GenericPackedTensorAccessorINS5_14TensorAccessorIN3c108ArrayRefIlEEKT_Lm4ENS4_16DefaultPtrTraitsElEENS_6detail16IndexBoundsCheckILm5ElEESC_Lm5ESD_lEENS6_INS7_ISA_SB_Lm4ESD_lEESH_SB_Lm5ESD_lEEiiiii
		.amdhsa_group_segment_fixed_size 0
		.amdhsa_private_segment_fixed_size 0
		.amdhsa_kernarg_size 456
		.amdhsa_user_sgpr_count 13
		.amdhsa_user_sgpr_dispatch_ptr 0
		.amdhsa_user_sgpr_queue_ptr 0
		.amdhsa_user_sgpr_kernarg_segment_ptr 1
		.amdhsa_user_sgpr_dispatch_id 0
		.amdhsa_user_sgpr_private_segment_size 0
		.amdhsa_wavefront_size32 1
		.amdhsa_uses_dynamic_stack 0
		.amdhsa_enable_private_segment 0
		.amdhsa_system_sgpr_workgroup_id_x 1
		.amdhsa_system_sgpr_workgroup_id_y 1
		.amdhsa_system_sgpr_workgroup_id_z 1
		.amdhsa_system_sgpr_workgroup_info 0
		.amdhsa_system_vgpr_workitem_id 0
		.amdhsa_next_free_vgpr 17
		.amdhsa_next_free_sgpr 32
		.amdhsa_reserve_vcc 1
		.amdhsa_float_round_mode_32 0
		.amdhsa_float_round_mode_16_64 0
		.amdhsa_float_denorm_mode_32 3
		.amdhsa_float_denorm_mode_16_64 3
		.amdhsa_dx10_clamp 1
		.amdhsa_ieee_mode 1
		.amdhsa_fp16_overflow 0
		.amdhsa_workgroup_processor_mode 1
		.amdhsa_memory_ordered 1
		.amdhsa_forward_progress 0
		.amdhsa_shared_vgpr_count 0
		.amdhsa_exception_fp_ieee_invalid_op 0
		.amdhsa_exception_fp_denorm_src 0
		.amdhsa_exception_fp_ieee_div_zero 0
		.amdhsa_exception_fp_ieee_overflow 0
		.amdhsa_exception_fp_ieee_underflow 0
		.amdhsa_exception_fp_ieee_inexact 0
		.amdhsa_exception_int_div_zero 0
	.end_amdhsa_kernel
	.section	.text._ZN2at6native12_GLOBAL__N_132replication_pad_forward_kernel3dIiEEvN5torch10headeronly6detail27GenericPackedTensorAccessorINS5_14TensorAccessorIN3c108ArrayRefIlEEKT_Lm4ENS4_16DefaultPtrTraitsElEENS_6detail16IndexBoundsCheckILm5ElEESC_Lm5ESD_lEENS6_INS7_ISA_SB_Lm4ESD_lEESH_SB_Lm5ESD_lEEiiiii,"axG",@progbits,_ZN2at6native12_GLOBAL__N_132replication_pad_forward_kernel3dIiEEvN5torch10headeronly6detail27GenericPackedTensorAccessorINS5_14TensorAccessorIN3c108ArrayRefIlEEKT_Lm4ENS4_16DefaultPtrTraitsElEENS_6detail16IndexBoundsCheckILm5ElEESC_Lm5ESD_lEENS6_INS7_ISA_SB_Lm4ESD_lEESH_SB_Lm5ESD_lEEiiiii,comdat
.Lfunc_end42:
	.size	_ZN2at6native12_GLOBAL__N_132replication_pad_forward_kernel3dIiEEvN5torch10headeronly6detail27GenericPackedTensorAccessorINS5_14TensorAccessorIN3c108ArrayRefIlEEKT_Lm4ENS4_16DefaultPtrTraitsElEENS_6detail16IndexBoundsCheckILm5ElEESC_Lm5ESD_lEENS6_INS7_ISA_SB_Lm4ESD_lEESH_SB_Lm5ESD_lEEiiiii, .Lfunc_end42-_ZN2at6native12_GLOBAL__N_132replication_pad_forward_kernel3dIiEEvN5torch10headeronly6detail27GenericPackedTensorAccessorINS5_14TensorAccessorIN3c108ArrayRefIlEEKT_Lm4ENS4_16DefaultPtrTraitsElEENS_6detail16IndexBoundsCheckILm5ElEESC_Lm5ESD_lEENS6_INS7_ISA_SB_Lm4ESD_lEESH_SB_Lm5ESD_lEEiiiii
                                        ; -- End function
	.section	.AMDGPU.csdata,"",@progbits
; Kernel info:
; codeLenInByte = 3796
; NumSgprs: 34
; NumVgprs: 17
; ScratchSize: 0
; MemoryBound: 0
; FloatMode: 240
; IeeeMode: 1
; LDSByteSize: 0 bytes/workgroup (compile time only)
; SGPRBlocks: 4
; VGPRBlocks: 2
; NumSGPRsForWavesPerEU: 34
; NumVGPRsForWavesPerEU: 17
; Occupancy: 16
; WaveLimiterHint : 1
; COMPUTE_PGM_RSRC2:SCRATCH_EN: 0
; COMPUTE_PGM_RSRC2:USER_SGPR: 13
; COMPUTE_PGM_RSRC2:TRAP_HANDLER: 0
; COMPUTE_PGM_RSRC2:TGID_X_EN: 1
; COMPUTE_PGM_RSRC2:TGID_Y_EN: 1
; COMPUTE_PGM_RSRC2:TGID_Z_EN: 1
; COMPUTE_PGM_RSRC2:TIDIG_COMP_CNT: 0
	.section	.text._ZN2at6native12_GLOBAL__N_132replication_pad_forward_kernel3dIlEEvN5torch10headeronly6detail27GenericPackedTensorAccessorINS5_14TensorAccessorIN3c108ArrayRefIlEEKT_Lm4ENS4_16DefaultPtrTraitsElEENS_6detail16IndexBoundsCheckILm5ElEESC_Lm5ESD_lEENS6_INS7_ISA_SB_Lm4ESD_lEESH_SB_Lm5ESD_lEEiiiii,"axG",@progbits,_ZN2at6native12_GLOBAL__N_132replication_pad_forward_kernel3dIlEEvN5torch10headeronly6detail27GenericPackedTensorAccessorINS5_14TensorAccessorIN3c108ArrayRefIlEEKT_Lm4ENS4_16DefaultPtrTraitsElEENS_6detail16IndexBoundsCheckILm5ElEESC_Lm5ESD_lEENS6_INS7_ISA_SB_Lm4ESD_lEESH_SB_Lm5ESD_lEEiiiii,comdat
	.globl	_ZN2at6native12_GLOBAL__N_132replication_pad_forward_kernel3dIlEEvN5torch10headeronly6detail27GenericPackedTensorAccessorINS5_14TensorAccessorIN3c108ArrayRefIlEEKT_Lm4ENS4_16DefaultPtrTraitsElEENS_6detail16IndexBoundsCheckILm5ElEESC_Lm5ESD_lEENS6_INS7_ISA_SB_Lm4ESD_lEESH_SB_Lm5ESD_lEEiiiii ; -- Begin function _ZN2at6native12_GLOBAL__N_132replication_pad_forward_kernel3dIlEEvN5torch10headeronly6detail27GenericPackedTensorAccessorINS5_14TensorAccessorIN3c108ArrayRefIlEEKT_Lm4ENS4_16DefaultPtrTraitsElEENS_6detail16IndexBoundsCheckILm5ElEESC_Lm5ESD_lEENS6_INS7_ISA_SB_Lm4ESD_lEESH_SB_Lm5ESD_lEEiiiii
	.p2align	8
	.type	_ZN2at6native12_GLOBAL__N_132replication_pad_forward_kernel3dIlEEvN5torch10headeronly6detail27GenericPackedTensorAccessorINS5_14TensorAccessorIN3c108ArrayRefIlEEKT_Lm4ENS4_16DefaultPtrTraitsElEENS_6detail16IndexBoundsCheckILm5ElEESC_Lm5ESD_lEENS6_INS7_ISA_SB_Lm4ESD_lEESH_SB_Lm5ESD_lEEiiiii,@function
_ZN2at6native12_GLOBAL__N_132replication_pad_forward_kernel3dIlEEvN5torch10headeronly6detail27GenericPackedTensorAccessorINS5_14TensorAccessorIN3c108ArrayRefIlEEKT_Lm4ENS4_16DefaultPtrTraitsElEENS_6detail16IndexBoundsCheckILm5ElEESC_Lm5ESD_lEENS6_INS7_ISA_SB_Lm4ESD_lEESH_SB_Lm5ESD_lEEiiiii: ; @_ZN2at6native12_GLOBAL__N_132replication_pad_forward_kernel3dIlEEvN5torch10headeronly6detail27GenericPackedTensorAccessorINS5_14TensorAccessorIN3c108ArrayRefIlEEKT_Lm4ENS4_16DefaultPtrTraitsElEENS_6detail16IndexBoundsCheckILm5ElEESC_Lm5ESD_lEENS6_INS7_ISA_SB_Lm4ESD_lEESH_SB_Lm5ESD_lEEiiiii
; %bb.0:
	s_clause 0x2
	s_load_b32 s2, s[0:1], 0xd4
	s_load_b128 s[4:7], s[0:1], 0x70
	s_load_b64 s[8:9], s[0:1], 0x80
	s_waitcnt lgkmcnt(0)
	s_and_b32 s2, s2, 0xffff
	s_delay_alu instid0(SALU_CYCLE_1)
	v_mad_u64_u32 v[1:2], null, s13, s2, v[0:1]
	s_mul_i32 s10, s8, s7
	s_mul_hi_u32 s11, s8, s6
	s_mul_i32 s2, s9, s6
	s_mul_i32 s3, s8, s6
	s_add_i32 s12, s11, s10
	s_mul_i32 s5, s3, s5
	s_mul_hi_u32 s10, s3, s4
	s_add_i32 s12, s12, s2
	v_ashrrev_i32_e32 v2, 31, v1
	s_add_i32 s2, s10, s5
	s_mul_i32 s5, s12, s4
	s_mul_i32 s4, s3, s4
	s_add_i32 s5, s2, s5
	s_mov_b32 s2, exec_lo
	v_cmpx_gt_i64_e64 s[4:5], v[1:2]
	s_cbranch_execz .LBB43_14
; %bb.1:
	v_or_b32_e32 v4, s9, v2
	v_mov_b32_e32 v3, 0
	s_delay_alu instid0(VALU_DEP_1) | instskip(SKIP_1) | instid1(SALU_CYCLE_1)
	v_cmp_ne_u64_e32 vcc_lo, 0, v[3:4]
                                        ; implicit-def: $vgpr3_vgpr4
	s_and_saveexec_b32 s2, vcc_lo
	s_xor_b32 s13, exec_lo, s2
	s_cbranch_execz .LBB43_3
; %bb.2:
	s_ashr_i32 s4, s9, 31
	s_delay_alu instid0(SALU_CYCLE_1) | instskip(SKIP_2) | instid1(SALU_CYCLE_1)
	s_add_u32 s10, s8, s4
	s_mov_b32 s5, s4
	s_addc_u32 s11, s9, s4
	s_xor_b64 s[10:11], s[10:11], s[4:5]
	s_delay_alu instid0(SALU_CYCLE_1) | instskip(SKIP_3) | instid1(VALU_DEP_1)
	v_cvt_f32_u32_e32 v0, s10
	v_cvt_f32_u32_e32 v3, s11
	s_sub_u32 s2, 0, s10
	s_subb_u32 s5, 0, s11
	v_fmamk_f32 v0, v3, 0x4f800000, v0
	s_delay_alu instid0(VALU_DEP_1) | instskip(SKIP_2) | instid1(VALU_DEP_1)
	v_rcp_f32_e32 v0, v0
	s_waitcnt_depctr 0xfff
	v_mul_f32_e32 v0, 0x5f7ffffc, v0
	v_mul_f32_e32 v3, 0x2f800000, v0
	s_delay_alu instid0(VALU_DEP_1) | instskip(NEXT) | instid1(VALU_DEP_1)
	v_trunc_f32_e32 v3, v3
	v_fmamk_f32 v0, v3, 0xcf800000, v0
	v_cvt_u32_f32_e32 v3, v3
	s_delay_alu instid0(VALU_DEP_2) | instskip(NEXT) | instid1(VALU_DEP_2)
	v_cvt_u32_f32_e32 v0, v0
	v_mul_lo_u32 v4, s2, v3
	s_delay_alu instid0(VALU_DEP_2) | instskip(SKIP_1) | instid1(VALU_DEP_2)
	v_mul_hi_u32 v5, s2, v0
	v_mul_lo_u32 v6, s5, v0
	v_add_nc_u32_e32 v4, v5, v4
	v_mul_lo_u32 v5, s2, v0
	s_delay_alu instid0(VALU_DEP_2) | instskip(NEXT) | instid1(VALU_DEP_2)
	v_add_nc_u32_e32 v4, v4, v6
	v_mul_hi_u32 v6, v0, v5
	s_delay_alu instid0(VALU_DEP_2)
	v_mul_lo_u32 v7, v0, v4
	v_mul_hi_u32 v8, v0, v4
	v_mul_hi_u32 v9, v3, v5
	v_mul_lo_u32 v5, v3, v5
	v_mul_hi_u32 v10, v3, v4
	v_mul_lo_u32 v4, v3, v4
	v_add_co_u32 v6, vcc_lo, v6, v7
	v_add_co_ci_u32_e32 v7, vcc_lo, 0, v8, vcc_lo
	s_delay_alu instid0(VALU_DEP_2) | instskip(NEXT) | instid1(VALU_DEP_2)
	v_add_co_u32 v5, vcc_lo, v6, v5
	v_add_co_ci_u32_e32 v5, vcc_lo, v7, v9, vcc_lo
	v_add_co_ci_u32_e32 v6, vcc_lo, 0, v10, vcc_lo
	v_ashrrev_i32_e32 v9, 31, v2
	s_delay_alu instid0(VALU_DEP_3) | instskip(NEXT) | instid1(VALU_DEP_3)
	v_add_co_u32 v4, vcc_lo, v5, v4
	v_add_co_ci_u32_e32 v5, vcc_lo, 0, v6, vcc_lo
	s_delay_alu instid0(VALU_DEP_2) | instskip(NEXT) | instid1(VALU_DEP_2)
	v_add_co_u32 v0, vcc_lo, v0, v4
	v_add_co_ci_u32_e32 v3, vcc_lo, v3, v5, vcc_lo
	s_delay_alu instid0(VALU_DEP_2) | instskip(SKIP_1) | instid1(VALU_DEP_3)
	v_mul_hi_u32 v4, s2, v0
	v_mul_lo_u32 v6, s5, v0
	v_mul_lo_u32 v5, s2, v3
	s_delay_alu instid0(VALU_DEP_1) | instskip(SKIP_1) | instid1(VALU_DEP_2)
	v_add_nc_u32_e32 v4, v4, v5
	v_mul_lo_u32 v5, s2, v0
	v_add_nc_u32_e32 v4, v4, v6
	s_delay_alu instid0(VALU_DEP_2) | instskip(NEXT) | instid1(VALU_DEP_2)
	v_mul_hi_u32 v6, v0, v5
	v_mul_lo_u32 v7, v0, v4
	v_mul_hi_u32 v8, v0, v4
	v_mul_hi_u32 v10, v3, v5
	v_mul_lo_u32 v5, v3, v5
	v_mul_hi_u32 v11, v3, v4
	v_mul_lo_u32 v4, v3, v4
	v_add_co_u32 v6, vcc_lo, v6, v7
	v_add_co_ci_u32_e32 v7, vcc_lo, 0, v8, vcc_lo
	s_delay_alu instid0(VALU_DEP_2) | instskip(NEXT) | instid1(VALU_DEP_2)
	v_add_co_u32 v5, vcc_lo, v6, v5
	v_add_co_ci_u32_e32 v5, vcc_lo, v7, v10, vcc_lo
	v_add_co_ci_u32_e32 v6, vcc_lo, 0, v11, vcc_lo
	v_add_co_u32 v7, vcc_lo, v1, v9
	v_add_co_ci_u32_e32 v8, vcc_lo, v2, v9, vcc_lo
	s_delay_alu instid0(VALU_DEP_4) | instskip(NEXT) | instid1(VALU_DEP_4)
	v_add_co_u32 v4, vcc_lo, v5, v4
	v_add_co_ci_u32_e32 v5, vcc_lo, 0, v6, vcc_lo
	s_delay_alu instid0(VALU_DEP_4) | instskip(NEXT) | instid1(VALU_DEP_3)
	v_xor_b32_e32 v10, v7, v9
	v_add_co_u32 v0, vcc_lo, v0, v4
	s_delay_alu instid0(VALU_DEP_3) | instskip(SKIP_1) | instid1(VALU_DEP_3)
	v_add_co_ci_u32_e32 v11, vcc_lo, v3, v5, vcc_lo
	v_xor_b32_e32 v12, v8, v9
	v_mul_hi_u32 v13, v10, v0
	s_delay_alu instid0(VALU_DEP_3) | instskip(NEXT) | instid1(VALU_DEP_3)
	v_mad_u64_u32 v[3:4], null, v10, v11, 0
	v_mad_u64_u32 v[5:6], null, v12, v0, 0
	;; [unrolled: 1-line block ×3, first 2 shown]
	s_delay_alu instid0(VALU_DEP_3) | instskip(NEXT) | instid1(VALU_DEP_4)
	v_add_co_u32 v0, vcc_lo, v13, v3
	v_add_co_ci_u32_e32 v3, vcc_lo, 0, v4, vcc_lo
	s_delay_alu instid0(VALU_DEP_2) | instskip(NEXT) | instid1(VALU_DEP_2)
	v_add_co_u32 v0, vcc_lo, v0, v5
	v_add_co_ci_u32_e32 v0, vcc_lo, v3, v6, vcc_lo
	v_add_co_ci_u32_e32 v3, vcc_lo, 0, v8, vcc_lo
	s_delay_alu instid0(VALU_DEP_2) | instskip(NEXT) | instid1(VALU_DEP_2)
	v_add_co_u32 v0, vcc_lo, v0, v7
	v_add_co_ci_u32_e32 v5, vcc_lo, 0, v3, vcc_lo
	s_delay_alu instid0(VALU_DEP_2) | instskip(SKIP_1) | instid1(VALU_DEP_3)
	v_mul_lo_u32 v6, s11, v0
	v_mad_u64_u32 v[3:4], null, s10, v0, 0
	v_mul_lo_u32 v7, s10, v5
	s_delay_alu instid0(VALU_DEP_2) | instskip(NEXT) | instid1(VALU_DEP_2)
	v_sub_co_u32 v3, vcc_lo, v10, v3
	v_add3_u32 v4, v4, v7, v6
	s_delay_alu instid0(VALU_DEP_1) | instskip(NEXT) | instid1(VALU_DEP_1)
	v_sub_nc_u32_e32 v6, v12, v4
	v_subrev_co_ci_u32_e64 v6, s2, s11, v6, vcc_lo
	v_add_co_u32 v7, s2, v0, 2
	s_delay_alu instid0(VALU_DEP_1) | instskip(SKIP_3) | instid1(VALU_DEP_3)
	v_add_co_ci_u32_e64 v8, s2, 0, v5, s2
	v_sub_co_u32 v10, s2, v3, s10
	v_sub_co_ci_u32_e32 v4, vcc_lo, v12, v4, vcc_lo
	v_subrev_co_ci_u32_e64 v6, s2, 0, v6, s2
	v_cmp_le_u32_e32 vcc_lo, s10, v10
	s_delay_alu instid0(VALU_DEP_3) | instskip(SKIP_1) | instid1(VALU_DEP_4)
	v_cmp_eq_u32_e64 s2, s11, v4
	v_cndmask_b32_e64 v10, 0, -1, vcc_lo
	v_cmp_le_u32_e32 vcc_lo, s11, v6
	v_cndmask_b32_e64 v11, 0, -1, vcc_lo
	v_cmp_le_u32_e32 vcc_lo, s10, v3
	;; [unrolled: 2-line block ×3, first 2 shown]
	v_cndmask_b32_e64 v12, 0, -1, vcc_lo
	v_cmp_eq_u32_e32 vcc_lo, s11, v6
	s_delay_alu instid0(VALU_DEP_2) | instskip(SKIP_3) | instid1(VALU_DEP_3)
	v_cndmask_b32_e64 v3, v12, v3, s2
	v_cndmask_b32_e32 v6, v11, v10, vcc_lo
	v_add_co_u32 v10, vcc_lo, v0, 1
	v_add_co_ci_u32_e32 v11, vcc_lo, 0, v5, vcc_lo
	v_cmp_ne_u32_e32 vcc_lo, 0, v6
	s_delay_alu instid0(VALU_DEP_2) | instskip(NEXT) | instid1(VALU_DEP_4)
	v_cndmask_b32_e32 v4, v11, v8, vcc_lo
	v_cndmask_b32_e32 v6, v10, v7, vcc_lo
	v_cmp_ne_u32_e32 vcc_lo, 0, v3
	v_xor_b32_e32 v7, s4, v9
	s_delay_alu instid0(VALU_DEP_3) | instskip(NEXT) | instid1(VALU_DEP_1)
	v_dual_cndmask_b32 v0, v0, v6 :: v_dual_cndmask_b32 v3, v5, v4
	v_xor_b32_e32 v0, v0, v7
	s_delay_alu instid0(VALU_DEP_2) | instskip(NEXT) | instid1(VALU_DEP_2)
	v_xor_b32_e32 v4, v3, v7
	v_sub_co_u32 v3, vcc_lo, v0, v7
	s_delay_alu instid0(VALU_DEP_2)
	v_sub_co_ci_u32_e32 v4, vcc_lo, v4, v7, vcc_lo
.LBB43_3:
	s_and_not1_saveexec_b32 s2, s13
	s_cbranch_execz .LBB43_5
; %bb.4:
	v_cvt_f32_u32_e32 v0, s8
	s_sub_i32 s4, 0, s8
	s_delay_alu instid0(VALU_DEP_1) | instskip(SKIP_2) | instid1(VALU_DEP_1)
	v_rcp_iflag_f32_e32 v0, v0
	s_waitcnt_depctr 0xfff
	v_mul_f32_e32 v0, 0x4f7ffffe, v0
	v_cvt_u32_f32_e32 v0, v0
	s_delay_alu instid0(VALU_DEP_1) | instskip(NEXT) | instid1(VALU_DEP_1)
	v_mul_lo_u32 v3, s4, v0
	v_mul_hi_u32 v3, v0, v3
	s_delay_alu instid0(VALU_DEP_1) | instskip(NEXT) | instid1(VALU_DEP_1)
	v_add_nc_u32_e32 v0, v0, v3
	v_mul_hi_u32 v0, v1, v0
	s_delay_alu instid0(VALU_DEP_1) | instskip(SKIP_1) | instid1(VALU_DEP_2)
	v_mul_lo_u32 v3, v0, s8
	v_add_nc_u32_e32 v4, 1, v0
	v_sub_nc_u32_e32 v3, v1, v3
	s_delay_alu instid0(VALU_DEP_1) | instskip(SKIP_1) | instid1(VALU_DEP_2)
	v_subrev_nc_u32_e32 v5, s8, v3
	v_cmp_le_u32_e32 vcc_lo, s8, v3
	v_dual_cndmask_b32 v3, v3, v5 :: v_dual_cndmask_b32 v0, v0, v4
	s_delay_alu instid0(VALU_DEP_1) | instskip(NEXT) | instid1(VALU_DEP_2)
	v_cmp_le_u32_e32 vcc_lo, s8, v3
	v_add_nc_u32_e32 v4, 1, v0
	s_delay_alu instid0(VALU_DEP_1)
	v_dual_cndmask_b32 v3, v0, v4 :: v_dual_mov_b32 v4, 0
.LBB43_5:
	s_or_b32 exec_lo, exec_lo, s2
	s_delay_alu instid0(VALU_DEP_1) | instskip(SKIP_1) | instid1(VALU_DEP_1)
	v_or_b32_e32 v6, s7, v4
	v_mov_b32_e32 v5, 0
	v_cmp_ne_u64_e32 vcc_lo, 0, v[5:6]
                                        ; implicit-def: $vgpr5_vgpr6
	s_and_saveexec_b32 s2, vcc_lo
	s_delay_alu instid0(SALU_CYCLE_1)
	s_xor_b32 s10, exec_lo, s2
	s_cbranch_execz .LBB43_7
; %bb.6:
	s_ashr_i32 s4, s7, 31
	s_delay_alu instid0(SALU_CYCLE_1) | instskip(SKIP_2) | instid1(SALU_CYCLE_1)
	s_add_u32 s16, s6, s4
	s_mov_b32 s5, s4
	s_addc_u32 s17, s7, s4
	s_xor_b64 s[4:5], s[16:17], s[4:5]
	s_delay_alu instid0(SALU_CYCLE_1) | instskip(SKIP_3) | instid1(VALU_DEP_1)
	v_cvt_f32_u32_e32 v0, s4
	v_cvt_f32_u32_e32 v5, s5
	s_sub_u32 s2, 0, s4
	s_subb_u32 s7, 0, s5
	v_fmamk_f32 v0, v5, 0x4f800000, v0
	s_delay_alu instid0(VALU_DEP_1) | instskip(SKIP_2) | instid1(VALU_DEP_1)
	v_rcp_f32_e32 v0, v0
	s_waitcnt_depctr 0xfff
	v_mul_f32_e32 v0, 0x5f7ffffc, v0
	v_mul_f32_e32 v5, 0x2f800000, v0
	s_delay_alu instid0(VALU_DEP_1) | instskip(NEXT) | instid1(VALU_DEP_1)
	v_trunc_f32_e32 v5, v5
	v_fmamk_f32 v0, v5, 0xcf800000, v0
	v_cvt_u32_f32_e32 v5, v5
	s_delay_alu instid0(VALU_DEP_2) | instskip(NEXT) | instid1(VALU_DEP_2)
	v_cvt_u32_f32_e32 v0, v0
	v_mul_lo_u32 v6, s2, v5
	s_delay_alu instid0(VALU_DEP_2) | instskip(SKIP_1) | instid1(VALU_DEP_2)
	v_mul_hi_u32 v7, s2, v0
	v_mul_lo_u32 v8, s7, v0
	v_add_nc_u32_e32 v6, v7, v6
	v_mul_lo_u32 v7, s2, v0
	s_delay_alu instid0(VALU_DEP_2) | instskip(NEXT) | instid1(VALU_DEP_2)
	v_add_nc_u32_e32 v6, v6, v8
	v_mul_hi_u32 v8, v0, v7
	s_delay_alu instid0(VALU_DEP_2)
	v_mul_lo_u32 v9, v0, v6
	v_mul_hi_u32 v10, v0, v6
	v_mul_hi_u32 v11, v5, v7
	v_mul_lo_u32 v7, v5, v7
	v_mul_hi_u32 v12, v5, v6
	v_mul_lo_u32 v6, v5, v6
	v_add_co_u32 v8, vcc_lo, v8, v9
	v_add_co_ci_u32_e32 v9, vcc_lo, 0, v10, vcc_lo
	s_delay_alu instid0(VALU_DEP_2) | instskip(NEXT) | instid1(VALU_DEP_2)
	v_add_co_u32 v7, vcc_lo, v8, v7
	v_add_co_ci_u32_e32 v7, vcc_lo, v9, v11, vcc_lo
	v_add_co_ci_u32_e32 v8, vcc_lo, 0, v12, vcc_lo
	v_ashrrev_i32_e32 v11, 31, v4
	s_delay_alu instid0(VALU_DEP_3) | instskip(NEXT) | instid1(VALU_DEP_3)
	v_add_co_u32 v6, vcc_lo, v7, v6
	v_add_co_ci_u32_e32 v7, vcc_lo, 0, v8, vcc_lo
	s_delay_alu instid0(VALU_DEP_2) | instskip(NEXT) | instid1(VALU_DEP_2)
	v_add_co_u32 v0, vcc_lo, v0, v6
	v_add_co_ci_u32_e32 v5, vcc_lo, v5, v7, vcc_lo
	s_delay_alu instid0(VALU_DEP_2) | instskip(SKIP_1) | instid1(VALU_DEP_3)
	v_mul_hi_u32 v6, s2, v0
	v_mul_lo_u32 v8, s7, v0
	v_mul_lo_u32 v7, s2, v5
	s_delay_alu instid0(VALU_DEP_1) | instskip(SKIP_1) | instid1(VALU_DEP_2)
	v_add_nc_u32_e32 v6, v6, v7
	v_mul_lo_u32 v7, s2, v0
	v_add_nc_u32_e32 v6, v6, v8
	s_delay_alu instid0(VALU_DEP_2) | instskip(NEXT) | instid1(VALU_DEP_2)
	v_mul_hi_u32 v8, v0, v7
	v_mul_lo_u32 v9, v0, v6
	v_mul_hi_u32 v10, v0, v6
	v_mul_hi_u32 v12, v5, v7
	v_mul_lo_u32 v7, v5, v7
	v_mul_hi_u32 v13, v5, v6
	v_mul_lo_u32 v6, v5, v6
	v_add_co_u32 v8, vcc_lo, v8, v9
	v_add_co_ci_u32_e32 v9, vcc_lo, 0, v10, vcc_lo
	s_delay_alu instid0(VALU_DEP_2) | instskip(NEXT) | instid1(VALU_DEP_2)
	v_add_co_u32 v7, vcc_lo, v8, v7
	v_add_co_ci_u32_e32 v7, vcc_lo, v9, v12, vcc_lo
	v_add_co_ci_u32_e32 v8, vcc_lo, 0, v13, vcc_lo
	v_add_co_u32 v9, vcc_lo, v3, v11
	v_add_co_ci_u32_e32 v10, vcc_lo, v4, v11, vcc_lo
	s_delay_alu instid0(VALU_DEP_4) | instskip(NEXT) | instid1(VALU_DEP_4)
	v_add_co_u32 v6, vcc_lo, v7, v6
	v_add_co_ci_u32_e32 v7, vcc_lo, 0, v8, vcc_lo
	s_delay_alu instid0(VALU_DEP_4) | instskip(NEXT) | instid1(VALU_DEP_3)
	v_xor_b32_e32 v12, v9, v11
	v_add_co_u32 v0, vcc_lo, v0, v6
	s_delay_alu instid0(VALU_DEP_3) | instskip(SKIP_1) | instid1(VALU_DEP_3)
	v_add_co_ci_u32_e32 v13, vcc_lo, v5, v7, vcc_lo
	v_xor_b32_e32 v14, v10, v11
	v_mul_hi_u32 v15, v12, v0
	s_delay_alu instid0(VALU_DEP_3) | instskip(NEXT) | instid1(VALU_DEP_3)
	v_mad_u64_u32 v[5:6], null, v12, v13, 0
	v_mad_u64_u32 v[7:8], null, v14, v0, 0
	;; [unrolled: 1-line block ×3, first 2 shown]
	s_delay_alu instid0(VALU_DEP_3) | instskip(NEXT) | instid1(VALU_DEP_4)
	v_add_co_u32 v0, vcc_lo, v15, v5
	v_add_co_ci_u32_e32 v5, vcc_lo, 0, v6, vcc_lo
	s_delay_alu instid0(VALU_DEP_2) | instskip(NEXT) | instid1(VALU_DEP_2)
	v_add_co_u32 v0, vcc_lo, v0, v7
	v_add_co_ci_u32_e32 v0, vcc_lo, v5, v8, vcc_lo
	v_add_co_ci_u32_e32 v5, vcc_lo, 0, v10, vcc_lo
	s_delay_alu instid0(VALU_DEP_2) | instskip(NEXT) | instid1(VALU_DEP_2)
	v_add_co_u32 v0, vcc_lo, v0, v9
	v_add_co_ci_u32_e32 v7, vcc_lo, 0, v5, vcc_lo
	s_delay_alu instid0(VALU_DEP_2) | instskip(SKIP_1) | instid1(VALU_DEP_3)
	v_mul_lo_u32 v8, s5, v0
	v_mad_u64_u32 v[5:6], null, s4, v0, 0
	v_mul_lo_u32 v0, s4, v7
	s_delay_alu instid0(VALU_DEP_2) | instskip(NEXT) | instid1(VALU_DEP_2)
	v_sub_co_u32 v5, vcc_lo, v12, v5
	v_add3_u32 v0, v6, v0, v8
	s_delay_alu instid0(VALU_DEP_1) | instskip(NEXT) | instid1(VALU_DEP_1)
	v_sub_nc_u32_e32 v6, v14, v0
	v_subrev_co_ci_u32_e64 v6, s2, s5, v6, vcc_lo
	s_delay_alu instid0(VALU_DEP_4) | instskip(SKIP_1) | instid1(VALU_DEP_3)
	v_sub_co_u32 v7, s2, v5, s4
	v_sub_co_ci_u32_e32 v0, vcc_lo, v14, v0, vcc_lo
	v_subrev_co_ci_u32_e64 v6, s2, 0, v6, s2
	s_delay_alu instid0(VALU_DEP_3) | instskip(SKIP_1) | instid1(VALU_DEP_3)
	v_cmp_le_u32_e32 vcc_lo, s4, v7
	v_cndmask_b32_e64 v8, 0, -1, vcc_lo
	v_cmp_le_u32_e32 vcc_lo, s5, v6
	v_cndmask_b32_e64 v9, 0, -1, vcc_lo
	;; [unrolled: 2-line block ×4, first 2 shown]
	v_cmp_eq_u32_e32 vcc_lo, s5, v6
	v_cndmask_b32_e32 v6, v9, v8, vcc_lo
	v_sub_co_u32 v8, vcc_lo, v7, s4
	v_cmp_eq_u32_e32 vcc_lo, s5, v0
	v_cndmask_b32_e32 v0, v12, v10, vcc_lo
	s_delay_alu instid0(VALU_DEP_4) | instskip(NEXT) | instid1(VALU_DEP_4)
	v_cmp_ne_u32_e32 vcc_lo, 0, v6
	v_cndmask_b32_e32 v6, v7, v8, vcc_lo
	s_delay_alu instid0(VALU_DEP_3) | instskip(NEXT) | instid1(VALU_DEP_2)
	v_cmp_ne_u32_e32 vcc_lo, 0, v0
	v_cndmask_b32_e32 v0, v5, v6, vcc_lo
	s_delay_alu instid0(VALU_DEP_1) | instskip(NEXT) | instid1(VALU_DEP_1)
	v_xor_b32_e32 v0, v0, v11
	v_sub_co_u32 v5, vcc_lo, v0, v11
.LBB43_7:
	s_and_not1_saveexec_b32 s2, s10
	s_cbranch_execz .LBB43_9
; %bb.8:
	v_cvt_f32_u32_e32 v0, s6
	s_sub_i32 s4, 0, s6
	s_delay_alu instid0(VALU_DEP_1) | instskip(SKIP_2) | instid1(VALU_DEP_1)
	v_rcp_iflag_f32_e32 v0, v0
	s_waitcnt_depctr 0xfff
	v_mul_f32_e32 v0, 0x4f7ffffe, v0
	v_cvt_u32_f32_e32 v0, v0
	s_delay_alu instid0(VALU_DEP_1) | instskip(NEXT) | instid1(VALU_DEP_1)
	v_mul_lo_u32 v5, s4, v0
	v_mul_hi_u32 v5, v0, v5
	s_delay_alu instid0(VALU_DEP_1) | instskip(NEXT) | instid1(VALU_DEP_1)
	v_add_nc_u32_e32 v0, v0, v5
	v_mul_hi_u32 v0, v3, v0
	s_delay_alu instid0(VALU_DEP_1) | instskip(NEXT) | instid1(VALU_DEP_1)
	v_mul_lo_u32 v0, v0, s6
	v_sub_nc_u32_e32 v0, v3, v0
	s_delay_alu instid0(VALU_DEP_1) | instskip(SKIP_1) | instid1(VALU_DEP_2)
	v_subrev_nc_u32_e32 v5, s6, v0
	v_cmp_le_u32_e32 vcc_lo, s6, v0
	v_cndmask_b32_e32 v0, v0, v5, vcc_lo
	s_delay_alu instid0(VALU_DEP_1) | instskip(SKIP_1) | instid1(VALU_DEP_2)
	v_subrev_nc_u32_e32 v5, s6, v0
	v_cmp_le_u32_e32 vcc_lo, s6, v0
	v_cndmask_b32_e32 v5, v0, v5, vcc_lo
.LBB43_9:
	s_or_b32 exec_lo, exec_lo, s2
	v_or_b32_e32 v7, s12, v2
	v_mov_b32_e32 v6, 0
	s_delay_alu instid0(VALU_DEP_1) | instskip(SKIP_1) | instid1(SALU_CYCLE_1)
	v_cmp_ne_u64_e32 vcc_lo, 0, v[6:7]
                                        ; implicit-def: $vgpr6_vgpr7
	s_and_saveexec_b32 s2, vcc_lo
	s_xor_b32 s10, exec_lo, s2
	s_cbranch_execz .LBB43_11
; %bb.10:
	s_ashr_i32 s4, s12, 31
	s_delay_alu instid0(SALU_CYCLE_1) | instskip(SKIP_2) | instid1(SALU_CYCLE_1)
	s_add_u32 s6, s3, s4
	s_mov_b32 s5, s4
	s_addc_u32 s7, s12, s4
	s_xor_b64 s[6:7], s[6:7], s[4:5]
	s_delay_alu instid0(SALU_CYCLE_1) | instskip(SKIP_3) | instid1(VALU_DEP_1)
	v_cvt_f32_u32_e32 v0, s6
	v_cvt_f32_u32_e32 v6, s7
	s_sub_u32 s2, 0, s6
	s_subb_u32 s5, 0, s7
	v_fmamk_f32 v0, v6, 0x4f800000, v0
	s_delay_alu instid0(VALU_DEP_1) | instskip(SKIP_2) | instid1(VALU_DEP_1)
	v_rcp_f32_e32 v0, v0
	s_waitcnt_depctr 0xfff
	v_mul_f32_e32 v0, 0x5f7ffffc, v0
	v_mul_f32_e32 v6, 0x2f800000, v0
	s_delay_alu instid0(VALU_DEP_1) | instskip(NEXT) | instid1(VALU_DEP_1)
	v_trunc_f32_e32 v6, v6
	v_fmamk_f32 v0, v6, 0xcf800000, v0
	v_cvt_u32_f32_e32 v6, v6
	s_delay_alu instid0(VALU_DEP_2) | instskip(NEXT) | instid1(VALU_DEP_2)
	v_cvt_u32_f32_e32 v0, v0
	v_mul_lo_u32 v7, s2, v6
	s_delay_alu instid0(VALU_DEP_2) | instskip(SKIP_1) | instid1(VALU_DEP_2)
	v_mul_hi_u32 v8, s2, v0
	v_mul_lo_u32 v9, s5, v0
	v_add_nc_u32_e32 v7, v8, v7
	v_mul_lo_u32 v8, s2, v0
	s_delay_alu instid0(VALU_DEP_2) | instskip(NEXT) | instid1(VALU_DEP_2)
	v_add_nc_u32_e32 v7, v7, v9
	v_mul_hi_u32 v9, v0, v8
	s_delay_alu instid0(VALU_DEP_2)
	v_mul_lo_u32 v10, v0, v7
	v_mul_hi_u32 v11, v0, v7
	v_mul_hi_u32 v12, v6, v8
	v_mul_lo_u32 v8, v6, v8
	v_mul_hi_u32 v13, v6, v7
	v_mul_lo_u32 v7, v6, v7
	v_add_co_u32 v9, vcc_lo, v9, v10
	v_add_co_ci_u32_e32 v10, vcc_lo, 0, v11, vcc_lo
	s_delay_alu instid0(VALU_DEP_2) | instskip(NEXT) | instid1(VALU_DEP_2)
	v_add_co_u32 v8, vcc_lo, v9, v8
	v_add_co_ci_u32_e32 v8, vcc_lo, v10, v12, vcc_lo
	v_add_co_ci_u32_e32 v9, vcc_lo, 0, v13, vcc_lo
	v_mov_b32_e32 v12, v2
	s_delay_alu instid0(VALU_DEP_3) | instskip(NEXT) | instid1(VALU_DEP_3)
	v_add_co_u32 v7, vcc_lo, v8, v7
	v_add_co_ci_u32_e32 v8, vcc_lo, 0, v9, vcc_lo
	v_mov_b32_e32 v13, v2
	s_delay_alu instid0(VALU_DEP_3) | instskip(NEXT) | instid1(VALU_DEP_3)
	v_add_co_u32 v0, vcc_lo, v0, v7
	v_add_co_ci_u32_e32 v6, vcc_lo, v6, v8, vcc_lo
	s_delay_alu instid0(VALU_DEP_2) | instskip(SKIP_1) | instid1(VALU_DEP_3)
	v_mul_hi_u32 v7, s2, v0
	v_mul_lo_u32 v9, s5, v0
	v_mul_lo_u32 v8, s2, v6
	s_delay_alu instid0(VALU_DEP_1) | instskip(SKIP_1) | instid1(VALU_DEP_2)
	v_add_nc_u32_e32 v7, v7, v8
	v_mul_lo_u32 v8, s2, v0
	v_add_nc_u32_e32 v7, v7, v9
	s_delay_alu instid0(VALU_DEP_2) | instskip(NEXT) | instid1(VALU_DEP_2)
	v_mul_hi_u32 v9, v0, v8
	v_mul_lo_u32 v10, v0, v7
	v_mul_hi_u32 v11, v0, v7
	v_mul_hi_u32 v14, v6, v8
	v_mul_lo_u32 v8, v6, v8
	v_mul_hi_u32 v15, v6, v7
	v_mul_lo_u32 v7, v6, v7
	v_add_co_u32 v9, vcc_lo, v9, v10
	v_add_co_ci_u32_e32 v10, vcc_lo, 0, v11, vcc_lo
	s_delay_alu instid0(VALU_DEP_2) | instskip(NEXT) | instid1(VALU_DEP_2)
	v_add_co_u32 v8, vcc_lo, v9, v8
	v_add_co_ci_u32_e32 v8, vcc_lo, v10, v14, vcc_lo
	v_add_co_ci_u32_e32 v9, vcc_lo, 0, v15, vcc_lo
	v_add_co_u32 v10, vcc_lo, v1, v12
	v_add_co_ci_u32_e32 v11, vcc_lo, v2, v13, vcc_lo
	s_delay_alu instid0(VALU_DEP_4) | instskip(NEXT) | instid1(VALU_DEP_4)
	v_add_co_u32 v7, vcc_lo, v8, v7
	v_add_co_ci_u32_e32 v8, vcc_lo, 0, v9, vcc_lo
	s_delay_alu instid0(VALU_DEP_4) | instskip(NEXT) | instid1(VALU_DEP_3)
	v_xor_b32_e32 v14, v10, v12
	v_add_co_u32 v0, vcc_lo, v0, v7
	s_delay_alu instid0(VALU_DEP_3) | instskip(SKIP_1) | instid1(VALU_DEP_3)
	v_add_co_ci_u32_e32 v15, vcc_lo, v6, v8, vcc_lo
	v_xor_b32_e32 v13, v11, v13
	v_mul_hi_u32 v16, v14, v0
	s_delay_alu instid0(VALU_DEP_3) | instskip(NEXT) | instid1(VALU_DEP_3)
	v_mad_u64_u32 v[6:7], null, v14, v15, 0
	v_mad_u64_u32 v[8:9], null, v13, v0, 0
	;; [unrolled: 1-line block ×3, first 2 shown]
	s_delay_alu instid0(VALU_DEP_3) | instskip(NEXT) | instid1(VALU_DEP_4)
	v_add_co_u32 v0, vcc_lo, v16, v6
	v_add_co_ci_u32_e32 v6, vcc_lo, 0, v7, vcc_lo
	s_delay_alu instid0(VALU_DEP_2) | instskip(NEXT) | instid1(VALU_DEP_2)
	v_add_co_u32 v0, vcc_lo, v0, v8
	v_add_co_ci_u32_e32 v0, vcc_lo, v6, v9, vcc_lo
	v_add_co_ci_u32_e32 v6, vcc_lo, 0, v11, vcc_lo
	s_delay_alu instid0(VALU_DEP_2) | instskip(NEXT) | instid1(VALU_DEP_2)
	v_add_co_u32 v0, vcc_lo, v0, v10
	v_add_co_ci_u32_e32 v8, vcc_lo, 0, v6, vcc_lo
	s_delay_alu instid0(VALU_DEP_2) | instskip(SKIP_1) | instid1(VALU_DEP_3)
	v_mul_lo_u32 v9, s7, v0
	v_mad_u64_u32 v[6:7], null, s6, v0, 0
	v_mul_lo_u32 v8, s6, v8
	s_delay_alu instid0(VALU_DEP_2) | instskip(NEXT) | instid1(VALU_DEP_2)
	v_sub_co_u32 v6, vcc_lo, v14, v6
	v_add3_u32 v7, v7, v8, v9
	v_add_co_u32 v9, s2, v0, 2
	s_delay_alu instid0(VALU_DEP_2) | instskip(NEXT) | instid1(VALU_DEP_1)
	v_sub_nc_u32_e32 v8, v13, v7
	v_subrev_co_ci_u32_e64 v8, s2, s7, v8, vcc_lo
	v_sub_co_u32 v10, s2, v6, s6
	v_sub_co_ci_u32_e32 v7, vcc_lo, v13, v7, vcc_lo
	s_delay_alu instid0(VALU_DEP_3) | instskip(NEXT) | instid1(VALU_DEP_3)
	v_subrev_co_ci_u32_e64 v8, s2, 0, v8, s2
	v_cmp_le_u32_e32 vcc_lo, s6, v10
	v_cndmask_b32_e64 v10, 0, -1, vcc_lo
	s_delay_alu instid0(VALU_DEP_3)
	v_cmp_le_u32_e32 vcc_lo, s7, v8
	v_cndmask_b32_e64 v11, 0, -1, vcc_lo
	v_cmp_le_u32_e32 vcc_lo, s6, v6
	v_cndmask_b32_e64 v6, 0, -1, vcc_lo
	;; [unrolled: 2-line block ×3, first 2 shown]
	v_cmp_eq_u32_e32 vcc_lo, s7, v8
	v_cndmask_b32_e32 v8, v11, v10, vcc_lo
	v_add_co_u32 v10, vcc_lo, v0, 1
	v_cmp_eq_u32_e32 vcc_lo, s7, v7
	v_cndmask_b32_e32 v6, v13, v6, vcc_lo
	s_delay_alu instid0(VALU_DEP_4) | instskip(NEXT) | instid1(VALU_DEP_4)
	v_cmp_ne_u32_e32 vcc_lo, 0, v8
	v_cndmask_b32_e32 v7, v10, v9, vcc_lo
	s_delay_alu instid0(VALU_DEP_3) | instskip(SKIP_1) | instid1(VALU_DEP_3)
	v_cmp_ne_u32_e32 vcc_lo, 0, v6
	v_xor_b32_e32 v6, s4, v12
	v_cndmask_b32_e32 v0, v0, v7, vcc_lo
	s_delay_alu instid0(VALU_DEP_1) | instskip(NEXT) | instid1(VALU_DEP_1)
	v_xor_b32_e32 v0, v0, v6
	v_sub_co_u32 v6, vcc_lo, v0, v6
.LBB43_11:
	s_and_not1_saveexec_b32 s2, s10
	s_cbranch_execz .LBB43_13
; %bb.12:
	v_cvt_f32_u32_e32 v0, s3
	s_sub_i32 s4, 0, s3
	s_delay_alu instid0(VALU_DEP_1) | instskip(SKIP_2) | instid1(VALU_DEP_1)
	v_rcp_iflag_f32_e32 v0, v0
	s_waitcnt_depctr 0xfff
	v_mul_f32_e32 v0, 0x4f7ffffe, v0
	v_cvt_u32_f32_e32 v0, v0
	s_delay_alu instid0(VALU_DEP_1) | instskip(NEXT) | instid1(VALU_DEP_1)
	v_mul_lo_u32 v6, s4, v0
	v_mul_hi_u32 v6, v0, v6
	s_delay_alu instid0(VALU_DEP_1) | instskip(NEXT) | instid1(VALU_DEP_1)
	v_add_nc_u32_e32 v0, v0, v6
	v_mul_hi_u32 v0, v1, v0
	s_delay_alu instid0(VALU_DEP_1) | instskip(SKIP_1) | instid1(VALU_DEP_2)
	v_mul_lo_u32 v6, v0, s3
	v_add_nc_u32_e32 v7, 1, v0
	v_sub_nc_u32_e32 v6, v1, v6
	s_delay_alu instid0(VALU_DEP_1) | instskip(SKIP_1) | instid1(VALU_DEP_2)
	v_subrev_nc_u32_e32 v8, s3, v6
	v_cmp_le_u32_e32 vcc_lo, s3, v6
	v_cndmask_b32_e32 v6, v6, v8, vcc_lo
	v_cndmask_b32_e32 v0, v0, v7, vcc_lo
	s_delay_alu instid0(VALU_DEP_2) | instskip(NEXT) | instid1(VALU_DEP_2)
	v_cmp_le_u32_e32 vcc_lo, s3, v6
	v_add_nc_u32_e32 v7, 1, v0
	s_delay_alu instid0(VALU_DEP_1)
	v_cndmask_b32_e32 v6, v0, v7, vcc_lo
.LBB43_13:
	s_or_b32 exec_lo, exec_lo, s2
	s_clause 0x2
	s_load_b32 s10, s[0:1], 0xc0
	s_load_b128 s[4:7], s[0:1], 0xb0
	s_load_b512 s[16:31], s[0:1], 0x18
	v_mul_lo_u32 v0, v4, s8
	v_mul_lo_u32 v4, v3, s9
	v_mad_u64_u32 v[7:8], null, v3, s8, 0
	s_load_b64 s[2:3], s[0:1], 0xa8
	s_delay_alu instid0(VALU_DEP_1) | instskip(NEXT) | instid1(VALU_DEP_2)
	v_add3_u32 v0, v8, v4, v0
	v_sub_co_u32 v9, vcc_lo, v1, v7
	s_delay_alu instid0(VALU_DEP_2)
	v_sub_co_ci_u32_e32 v4, vcc_lo, v2, v0, vcc_lo
	s_waitcnt lgkmcnt(0)
	s_add_i32 s15, s15, s10
	s_add_i32 s14, s14, s7
	;; [unrolled: 1-line block ×3, first 2 shown]
	s_sub_i32 s7, 0, s6
	s_add_i32 s18, s18, -1
	s_sub_i32 s8, 0, s5
	s_add_i32 s19, s6, s20
	s_max_i32 s11, s5, 0
	v_maxmin_i32 v1, s5, v5, s18
	s_add_i32 s5, s4, s16
	s_max_i32 s10, s6, 0
	s_max_i32 s7, s7, 0
	;; [unrolled: 1-line block ×3, first 2 shown]
	s_add_i32 s19, s19, -1
	s_add_i32 s5, s5, -1
	s_sub_i32 s9, 0, s4
	v_maxmin_i32 v0, s6, v9, s19
	s_sub_i32 s6, s7, s10
	s_sub_i32 s7, s12, s11
	s_ashr_i32 s12, s15, 31
	v_maxmin_i32 v2, s4, v6, s5
	s_max_i32 s13, s9, 0
	s_max_i32 s17, s4, 0
	s_load_b64 s[8:9], s[0:1], 0x0
	s_mul_i32 s10, s22, s12
	s_mul_hi_u32 s11, s22, s15
	v_add_nc_u32_e32 v7, s7, v1
	s_add_i32 s4, s11, s10
	s_sub_i32 s10, s13, s17
	s_mul_i32 s5, s23, s15
	v_add_nc_u32_e32 v2, s10, v2
	v_add_nc_u32_e32 v10, s6, v0
	v_ashrrev_i32_e32 v3, 31, v7
	s_add_i32 s5, s4, s5
	s_mul_i32 s4, s22, s15
	v_ashrrev_i32_e32 v1, 31, v2
	v_mul_lo_u32 v11, s27, v2
	s_lshl_b64 s[4:5], s[4:5], 3
	v_mul_lo_u32 v12, s28, v3
	v_mul_lo_u32 v13, s29, v7
	;; [unrolled: 1-line block ×3, first 2 shown]
	v_mad_u64_u32 v[0:1], null, s26, v2, 0
	v_ashrrev_i32_e32 v14, 31, v10
	v_mad_u64_u32 v[2:3], null, s28, v7, 0
	s_waitcnt lgkmcnt(0)
	s_add_u32 s7, s8, s4
	s_addc_u32 s8, s9, s5
	s_ashr_i32 s13, s14, 31
	s_delay_alu instid0(VALU_DEP_3)
	v_add3_u32 v1, v1, v8, v11
	s_mul_i32 s4, s24, s13
	s_mul_hi_u32 s5, s24, s14
	v_mul_lo_u32 v11, s30, v14
	v_mul_lo_u32 v14, s31, v10
	v_mad_u64_u32 v[7:8], null, s30, v10, 0
	s_add_i32 s4, s5, s4
	s_mul_i32 s5, s25, s14
	v_add3_u32 v3, v3, v12, v13
	s_add_i32 s5, s4, s5
	s_mul_i32 s4, s24, s14
	v_lshlrev_b64 v[0:1], 3, v[0:1]
	s_lshl_b64 s[4:5], s[4:5], 3
	v_lshlrev_b64 v[2:3], 3, v[2:3]
	s_add_u32 s4, s7, s4
	v_add3_u32 v8, v8, v11, v14
	s_addc_u32 s5, s8, s5
	v_add_co_u32 v10, vcc_lo, s4, v0
	v_add_co_ci_u32_e32 v11, vcc_lo, s5, v1, vcc_lo
	s_delay_alu instid0(VALU_DEP_3) | instskip(NEXT) | instid1(VALU_DEP_3)
	v_lshlrev_b64 v[0:1], 3, v[7:8]
	v_add_co_u32 v2, vcc_lo, v10, v2
	s_delay_alu instid0(VALU_DEP_3) | instskip(SKIP_1) | instid1(VALU_DEP_3)
	v_add_co_ci_u32_e32 v3, vcc_lo, v11, v3, vcc_lo
	v_ashrrev_i32_e32 v7, 31, v5
	v_add_co_u32 v0, vcc_lo, v2, v0
	s_delay_alu instid0(VALU_DEP_3)
	v_add_co_ci_u32_e32 v1, vcc_lo, v3, v1, vcc_lo
	v_ashrrev_i32_e32 v2, 31, v6
	global_load_b64 v[0:1], v[0:1], off
	s_clause 0x1
	s_load_b256 s[4:11], s[0:1], 0x88
	s_load_b64 s[0:1], s[0:1], 0x58
	s_waitcnt lgkmcnt(0)
	s_mul_i32 s12, s4, s12
	s_mul_hi_u32 s16, s4, s15
	v_mul_lo_u32 v8, s9, v6
	v_mul_lo_u32 v10, s8, v2
	v_mad_u64_u32 v[2:3], null, s8, v6, 0
	s_add_i32 s12, s16, s12
	s_mul_i32 s5, s5, s15
	s_mul_i32 s4, s4, s15
	s_add_i32 s5, s12, s5
	v_mul_lo_u32 v11, s11, v5
	v_mul_lo_u32 v12, s10, v7
	v_mad_u64_u32 v[6:7], null, s10, v5, 0
	s_lshl_b64 s[4:5], s[4:5], 3
	v_add3_u32 v3, v3, v10, v8
	s_add_u32 s4, s0, s4
	s_addc_u32 s5, s1, s5
	s_mul_i32 s0, s6, s13
	s_mul_hi_u32 s1, s6, s14
	v_mul_lo_u32 v8, s3, v9
	v_mul_lo_u32 v10, s2, v4
	v_mad_u64_u32 v[4:5], null, s2, v9, 0
	s_add_i32 s0, s1, s0
	s_mul_i32 s1, s7, s14
	v_add3_u32 v7, v7, v12, v11
	s_add_i32 s1, s0, s1
	s_mul_i32 s0, s6, s14
	v_lshlrev_b64 v[2:3], 3, v[2:3]
	s_lshl_b64 s[0:1], s[0:1], 3
	v_lshlrev_b64 v[6:7], 3, v[6:7]
	s_add_u32 s0, s4, s0
	v_add3_u32 v5, v5, v10, v8
	s_addc_u32 s1, s5, s1
	v_add_co_u32 v8, vcc_lo, s0, v2
	v_add_co_ci_u32_e32 v9, vcc_lo, s1, v3, vcc_lo
	s_delay_alu instid0(VALU_DEP_3) | instskip(NEXT) | instid1(VALU_DEP_3)
	v_lshlrev_b64 v[2:3], 3, v[4:5]
	v_add_co_u32 v4, vcc_lo, v8, v6
	s_delay_alu instid0(VALU_DEP_3) | instskip(NEXT) | instid1(VALU_DEP_2)
	v_add_co_ci_u32_e32 v5, vcc_lo, v9, v7, vcc_lo
	v_add_co_u32 v2, vcc_lo, v4, v2
	s_delay_alu instid0(VALU_DEP_2)
	v_add_co_ci_u32_e32 v3, vcc_lo, v5, v3, vcc_lo
	s_waitcnt vmcnt(0)
	global_store_b64 v[2:3], v[0:1], off
.LBB43_14:
	s_nop 0
	s_sendmsg sendmsg(MSG_DEALLOC_VGPRS)
	s_endpgm
	.section	.rodata,"a",@progbits
	.p2align	6, 0x0
	.amdhsa_kernel _ZN2at6native12_GLOBAL__N_132replication_pad_forward_kernel3dIlEEvN5torch10headeronly6detail27GenericPackedTensorAccessorINS5_14TensorAccessorIN3c108ArrayRefIlEEKT_Lm4ENS4_16DefaultPtrTraitsElEENS_6detail16IndexBoundsCheckILm5ElEESC_Lm5ESD_lEENS6_INS7_ISA_SB_Lm4ESD_lEESH_SB_Lm5ESD_lEEiiiii
		.amdhsa_group_segment_fixed_size 0
		.amdhsa_private_segment_fixed_size 0
		.amdhsa_kernarg_size 456
		.amdhsa_user_sgpr_count 13
		.amdhsa_user_sgpr_dispatch_ptr 0
		.amdhsa_user_sgpr_queue_ptr 0
		.amdhsa_user_sgpr_kernarg_segment_ptr 1
		.amdhsa_user_sgpr_dispatch_id 0
		.amdhsa_user_sgpr_private_segment_size 0
		.amdhsa_wavefront_size32 1
		.amdhsa_uses_dynamic_stack 0
		.amdhsa_enable_private_segment 0
		.amdhsa_system_sgpr_workgroup_id_x 1
		.amdhsa_system_sgpr_workgroup_id_y 1
		.amdhsa_system_sgpr_workgroup_id_z 1
		.amdhsa_system_sgpr_workgroup_info 0
		.amdhsa_system_vgpr_workitem_id 0
		.amdhsa_next_free_vgpr 17
		.amdhsa_next_free_sgpr 32
		.amdhsa_reserve_vcc 1
		.amdhsa_float_round_mode_32 0
		.amdhsa_float_round_mode_16_64 0
		.amdhsa_float_denorm_mode_32 3
		.amdhsa_float_denorm_mode_16_64 3
		.amdhsa_dx10_clamp 1
		.amdhsa_ieee_mode 1
		.amdhsa_fp16_overflow 0
		.amdhsa_workgroup_processor_mode 1
		.amdhsa_memory_ordered 1
		.amdhsa_forward_progress 0
		.amdhsa_shared_vgpr_count 0
		.amdhsa_exception_fp_ieee_invalid_op 0
		.amdhsa_exception_fp_denorm_src 0
		.amdhsa_exception_fp_ieee_div_zero 0
		.amdhsa_exception_fp_ieee_overflow 0
		.amdhsa_exception_fp_ieee_underflow 0
		.amdhsa_exception_fp_ieee_inexact 0
		.amdhsa_exception_int_div_zero 0
	.end_amdhsa_kernel
	.section	.text._ZN2at6native12_GLOBAL__N_132replication_pad_forward_kernel3dIlEEvN5torch10headeronly6detail27GenericPackedTensorAccessorINS5_14TensorAccessorIN3c108ArrayRefIlEEKT_Lm4ENS4_16DefaultPtrTraitsElEENS_6detail16IndexBoundsCheckILm5ElEESC_Lm5ESD_lEENS6_INS7_ISA_SB_Lm4ESD_lEESH_SB_Lm5ESD_lEEiiiii,"axG",@progbits,_ZN2at6native12_GLOBAL__N_132replication_pad_forward_kernel3dIlEEvN5torch10headeronly6detail27GenericPackedTensorAccessorINS5_14TensorAccessorIN3c108ArrayRefIlEEKT_Lm4ENS4_16DefaultPtrTraitsElEENS_6detail16IndexBoundsCheckILm5ElEESC_Lm5ESD_lEENS6_INS7_ISA_SB_Lm4ESD_lEESH_SB_Lm5ESD_lEEiiiii,comdat
.Lfunc_end43:
	.size	_ZN2at6native12_GLOBAL__N_132replication_pad_forward_kernel3dIlEEvN5torch10headeronly6detail27GenericPackedTensorAccessorINS5_14TensorAccessorIN3c108ArrayRefIlEEKT_Lm4ENS4_16DefaultPtrTraitsElEENS_6detail16IndexBoundsCheckILm5ElEESC_Lm5ESD_lEENS6_INS7_ISA_SB_Lm4ESD_lEESH_SB_Lm5ESD_lEEiiiii, .Lfunc_end43-_ZN2at6native12_GLOBAL__N_132replication_pad_forward_kernel3dIlEEvN5torch10headeronly6detail27GenericPackedTensorAccessorINS5_14TensorAccessorIN3c108ArrayRefIlEEKT_Lm4ENS4_16DefaultPtrTraitsElEENS_6detail16IndexBoundsCheckILm5ElEESC_Lm5ESD_lEENS6_INS7_ISA_SB_Lm4ESD_lEESH_SB_Lm5ESD_lEEiiiii
                                        ; -- End function
	.section	.AMDGPU.csdata,"",@progbits
; Kernel info:
; codeLenInByte = 3796
; NumSgprs: 34
; NumVgprs: 17
; ScratchSize: 0
; MemoryBound: 0
; FloatMode: 240
; IeeeMode: 1
; LDSByteSize: 0 bytes/workgroup (compile time only)
; SGPRBlocks: 4
; VGPRBlocks: 2
; NumSGPRsForWavesPerEU: 34
; NumVGPRsForWavesPerEU: 17
; Occupancy: 16
; WaveLimiterHint : 1
; COMPUTE_PGM_RSRC2:SCRATCH_EN: 0
; COMPUTE_PGM_RSRC2:USER_SGPR: 13
; COMPUTE_PGM_RSRC2:TRAP_HANDLER: 0
; COMPUTE_PGM_RSRC2:TGID_X_EN: 1
; COMPUTE_PGM_RSRC2:TGID_Y_EN: 1
; COMPUTE_PGM_RSRC2:TGID_Z_EN: 1
; COMPUTE_PGM_RSRC2:TIDIG_COMP_CNT: 0
	.section	.text._ZN2at6native12_GLOBAL__N_132replication_pad_forward_kernel3dIsEEvN5torch10headeronly6detail27GenericPackedTensorAccessorINS5_14TensorAccessorIN3c108ArrayRefIlEEKT_Lm4ENS4_16DefaultPtrTraitsElEENS_6detail16IndexBoundsCheckILm5ElEESC_Lm5ESD_lEENS6_INS7_ISA_SB_Lm4ESD_lEESH_SB_Lm5ESD_lEEiiiii,"axG",@progbits,_ZN2at6native12_GLOBAL__N_132replication_pad_forward_kernel3dIsEEvN5torch10headeronly6detail27GenericPackedTensorAccessorINS5_14TensorAccessorIN3c108ArrayRefIlEEKT_Lm4ENS4_16DefaultPtrTraitsElEENS_6detail16IndexBoundsCheckILm5ElEESC_Lm5ESD_lEENS6_INS7_ISA_SB_Lm4ESD_lEESH_SB_Lm5ESD_lEEiiiii,comdat
	.globl	_ZN2at6native12_GLOBAL__N_132replication_pad_forward_kernel3dIsEEvN5torch10headeronly6detail27GenericPackedTensorAccessorINS5_14TensorAccessorIN3c108ArrayRefIlEEKT_Lm4ENS4_16DefaultPtrTraitsElEENS_6detail16IndexBoundsCheckILm5ElEESC_Lm5ESD_lEENS6_INS7_ISA_SB_Lm4ESD_lEESH_SB_Lm5ESD_lEEiiiii ; -- Begin function _ZN2at6native12_GLOBAL__N_132replication_pad_forward_kernel3dIsEEvN5torch10headeronly6detail27GenericPackedTensorAccessorINS5_14TensorAccessorIN3c108ArrayRefIlEEKT_Lm4ENS4_16DefaultPtrTraitsElEENS_6detail16IndexBoundsCheckILm5ElEESC_Lm5ESD_lEENS6_INS7_ISA_SB_Lm4ESD_lEESH_SB_Lm5ESD_lEEiiiii
	.p2align	8
	.type	_ZN2at6native12_GLOBAL__N_132replication_pad_forward_kernel3dIsEEvN5torch10headeronly6detail27GenericPackedTensorAccessorINS5_14TensorAccessorIN3c108ArrayRefIlEEKT_Lm4ENS4_16DefaultPtrTraitsElEENS_6detail16IndexBoundsCheckILm5ElEESC_Lm5ESD_lEENS6_INS7_ISA_SB_Lm4ESD_lEESH_SB_Lm5ESD_lEEiiiii,@function
_ZN2at6native12_GLOBAL__N_132replication_pad_forward_kernel3dIsEEvN5torch10headeronly6detail27GenericPackedTensorAccessorINS5_14TensorAccessorIN3c108ArrayRefIlEEKT_Lm4ENS4_16DefaultPtrTraitsElEENS_6detail16IndexBoundsCheckILm5ElEESC_Lm5ESD_lEENS6_INS7_ISA_SB_Lm4ESD_lEESH_SB_Lm5ESD_lEEiiiii: ; @_ZN2at6native12_GLOBAL__N_132replication_pad_forward_kernel3dIsEEvN5torch10headeronly6detail27GenericPackedTensorAccessorINS5_14TensorAccessorIN3c108ArrayRefIlEEKT_Lm4ENS4_16DefaultPtrTraitsElEENS_6detail16IndexBoundsCheckILm5ElEESC_Lm5ESD_lEENS6_INS7_ISA_SB_Lm4ESD_lEESH_SB_Lm5ESD_lEEiiiii
; %bb.0:
	s_clause 0x2
	s_load_b32 s2, s[0:1], 0xd4
	s_load_b128 s[4:7], s[0:1], 0x70
	s_load_b64 s[8:9], s[0:1], 0x80
	s_waitcnt lgkmcnt(0)
	s_and_b32 s2, s2, 0xffff
	s_delay_alu instid0(SALU_CYCLE_1)
	v_mad_u64_u32 v[1:2], null, s13, s2, v[0:1]
	s_mul_i32 s10, s8, s7
	s_mul_hi_u32 s11, s8, s6
	s_mul_i32 s2, s9, s6
	s_mul_i32 s3, s8, s6
	s_add_i32 s12, s11, s10
	s_mul_i32 s5, s3, s5
	s_mul_hi_u32 s10, s3, s4
	s_add_i32 s12, s12, s2
	v_ashrrev_i32_e32 v2, 31, v1
	s_add_i32 s2, s10, s5
	s_mul_i32 s5, s12, s4
	s_mul_i32 s4, s3, s4
	s_add_i32 s5, s2, s5
	s_mov_b32 s2, exec_lo
	v_cmpx_gt_i64_e64 s[4:5], v[1:2]
	s_cbranch_execz .LBB44_14
; %bb.1:
	v_or_b32_e32 v4, s9, v2
	v_mov_b32_e32 v3, 0
	s_delay_alu instid0(VALU_DEP_1) | instskip(SKIP_1) | instid1(SALU_CYCLE_1)
	v_cmp_ne_u64_e32 vcc_lo, 0, v[3:4]
                                        ; implicit-def: $vgpr3_vgpr4
	s_and_saveexec_b32 s2, vcc_lo
	s_xor_b32 s13, exec_lo, s2
	s_cbranch_execz .LBB44_3
; %bb.2:
	s_ashr_i32 s4, s9, 31
	s_delay_alu instid0(SALU_CYCLE_1) | instskip(SKIP_2) | instid1(SALU_CYCLE_1)
	s_add_u32 s10, s8, s4
	s_mov_b32 s5, s4
	s_addc_u32 s11, s9, s4
	s_xor_b64 s[10:11], s[10:11], s[4:5]
	s_delay_alu instid0(SALU_CYCLE_1) | instskip(SKIP_3) | instid1(VALU_DEP_1)
	v_cvt_f32_u32_e32 v0, s10
	v_cvt_f32_u32_e32 v3, s11
	s_sub_u32 s2, 0, s10
	s_subb_u32 s5, 0, s11
	v_fmamk_f32 v0, v3, 0x4f800000, v0
	s_delay_alu instid0(VALU_DEP_1) | instskip(SKIP_2) | instid1(VALU_DEP_1)
	v_rcp_f32_e32 v0, v0
	s_waitcnt_depctr 0xfff
	v_mul_f32_e32 v0, 0x5f7ffffc, v0
	v_mul_f32_e32 v3, 0x2f800000, v0
	s_delay_alu instid0(VALU_DEP_1) | instskip(NEXT) | instid1(VALU_DEP_1)
	v_trunc_f32_e32 v3, v3
	v_fmamk_f32 v0, v3, 0xcf800000, v0
	v_cvt_u32_f32_e32 v3, v3
	s_delay_alu instid0(VALU_DEP_2) | instskip(NEXT) | instid1(VALU_DEP_2)
	v_cvt_u32_f32_e32 v0, v0
	v_mul_lo_u32 v4, s2, v3
	s_delay_alu instid0(VALU_DEP_2) | instskip(SKIP_1) | instid1(VALU_DEP_2)
	v_mul_hi_u32 v5, s2, v0
	v_mul_lo_u32 v6, s5, v0
	v_add_nc_u32_e32 v4, v5, v4
	v_mul_lo_u32 v5, s2, v0
	s_delay_alu instid0(VALU_DEP_2) | instskip(NEXT) | instid1(VALU_DEP_2)
	v_add_nc_u32_e32 v4, v4, v6
	v_mul_hi_u32 v6, v0, v5
	s_delay_alu instid0(VALU_DEP_2)
	v_mul_lo_u32 v7, v0, v4
	v_mul_hi_u32 v8, v0, v4
	v_mul_hi_u32 v9, v3, v5
	v_mul_lo_u32 v5, v3, v5
	v_mul_hi_u32 v10, v3, v4
	v_mul_lo_u32 v4, v3, v4
	v_add_co_u32 v6, vcc_lo, v6, v7
	v_add_co_ci_u32_e32 v7, vcc_lo, 0, v8, vcc_lo
	s_delay_alu instid0(VALU_DEP_2) | instskip(NEXT) | instid1(VALU_DEP_2)
	v_add_co_u32 v5, vcc_lo, v6, v5
	v_add_co_ci_u32_e32 v5, vcc_lo, v7, v9, vcc_lo
	v_add_co_ci_u32_e32 v6, vcc_lo, 0, v10, vcc_lo
	v_ashrrev_i32_e32 v9, 31, v2
	s_delay_alu instid0(VALU_DEP_3) | instskip(NEXT) | instid1(VALU_DEP_3)
	v_add_co_u32 v4, vcc_lo, v5, v4
	v_add_co_ci_u32_e32 v5, vcc_lo, 0, v6, vcc_lo
	s_delay_alu instid0(VALU_DEP_2) | instskip(NEXT) | instid1(VALU_DEP_2)
	v_add_co_u32 v0, vcc_lo, v0, v4
	v_add_co_ci_u32_e32 v3, vcc_lo, v3, v5, vcc_lo
	s_delay_alu instid0(VALU_DEP_2) | instskip(SKIP_1) | instid1(VALU_DEP_3)
	v_mul_hi_u32 v4, s2, v0
	v_mul_lo_u32 v6, s5, v0
	v_mul_lo_u32 v5, s2, v3
	s_delay_alu instid0(VALU_DEP_1) | instskip(SKIP_1) | instid1(VALU_DEP_2)
	v_add_nc_u32_e32 v4, v4, v5
	v_mul_lo_u32 v5, s2, v0
	v_add_nc_u32_e32 v4, v4, v6
	s_delay_alu instid0(VALU_DEP_2) | instskip(NEXT) | instid1(VALU_DEP_2)
	v_mul_hi_u32 v6, v0, v5
	v_mul_lo_u32 v7, v0, v4
	v_mul_hi_u32 v8, v0, v4
	v_mul_hi_u32 v10, v3, v5
	v_mul_lo_u32 v5, v3, v5
	v_mul_hi_u32 v11, v3, v4
	v_mul_lo_u32 v4, v3, v4
	v_add_co_u32 v6, vcc_lo, v6, v7
	v_add_co_ci_u32_e32 v7, vcc_lo, 0, v8, vcc_lo
	s_delay_alu instid0(VALU_DEP_2) | instskip(NEXT) | instid1(VALU_DEP_2)
	v_add_co_u32 v5, vcc_lo, v6, v5
	v_add_co_ci_u32_e32 v5, vcc_lo, v7, v10, vcc_lo
	v_add_co_ci_u32_e32 v6, vcc_lo, 0, v11, vcc_lo
	v_add_co_u32 v7, vcc_lo, v1, v9
	v_add_co_ci_u32_e32 v8, vcc_lo, v2, v9, vcc_lo
	s_delay_alu instid0(VALU_DEP_4) | instskip(NEXT) | instid1(VALU_DEP_4)
	v_add_co_u32 v4, vcc_lo, v5, v4
	v_add_co_ci_u32_e32 v5, vcc_lo, 0, v6, vcc_lo
	s_delay_alu instid0(VALU_DEP_4) | instskip(NEXT) | instid1(VALU_DEP_3)
	v_xor_b32_e32 v10, v7, v9
	v_add_co_u32 v0, vcc_lo, v0, v4
	s_delay_alu instid0(VALU_DEP_3) | instskip(SKIP_1) | instid1(VALU_DEP_3)
	v_add_co_ci_u32_e32 v11, vcc_lo, v3, v5, vcc_lo
	v_xor_b32_e32 v12, v8, v9
	v_mul_hi_u32 v13, v10, v0
	s_delay_alu instid0(VALU_DEP_3) | instskip(NEXT) | instid1(VALU_DEP_3)
	v_mad_u64_u32 v[3:4], null, v10, v11, 0
	v_mad_u64_u32 v[5:6], null, v12, v0, 0
	;; [unrolled: 1-line block ×3, first 2 shown]
	s_delay_alu instid0(VALU_DEP_3) | instskip(NEXT) | instid1(VALU_DEP_4)
	v_add_co_u32 v0, vcc_lo, v13, v3
	v_add_co_ci_u32_e32 v3, vcc_lo, 0, v4, vcc_lo
	s_delay_alu instid0(VALU_DEP_2) | instskip(NEXT) | instid1(VALU_DEP_2)
	v_add_co_u32 v0, vcc_lo, v0, v5
	v_add_co_ci_u32_e32 v0, vcc_lo, v3, v6, vcc_lo
	v_add_co_ci_u32_e32 v3, vcc_lo, 0, v8, vcc_lo
	s_delay_alu instid0(VALU_DEP_2) | instskip(NEXT) | instid1(VALU_DEP_2)
	v_add_co_u32 v0, vcc_lo, v0, v7
	v_add_co_ci_u32_e32 v5, vcc_lo, 0, v3, vcc_lo
	s_delay_alu instid0(VALU_DEP_2) | instskip(SKIP_1) | instid1(VALU_DEP_3)
	v_mul_lo_u32 v6, s11, v0
	v_mad_u64_u32 v[3:4], null, s10, v0, 0
	v_mul_lo_u32 v7, s10, v5
	s_delay_alu instid0(VALU_DEP_2) | instskip(NEXT) | instid1(VALU_DEP_2)
	v_sub_co_u32 v3, vcc_lo, v10, v3
	v_add3_u32 v4, v4, v7, v6
	s_delay_alu instid0(VALU_DEP_1) | instskip(NEXT) | instid1(VALU_DEP_1)
	v_sub_nc_u32_e32 v6, v12, v4
	v_subrev_co_ci_u32_e64 v6, s2, s11, v6, vcc_lo
	v_add_co_u32 v7, s2, v0, 2
	s_delay_alu instid0(VALU_DEP_1) | instskip(SKIP_3) | instid1(VALU_DEP_3)
	v_add_co_ci_u32_e64 v8, s2, 0, v5, s2
	v_sub_co_u32 v10, s2, v3, s10
	v_sub_co_ci_u32_e32 v4, vcc_lo, v12, v4, vcc_lo
	v_subrev_co_ci_u32_e64 v6, s2, 0, v6, s2
	v_cmp_le_u32_e32 vcc_lo, s10, v10
	s_delay_alu instid0(VALU_DEP_3) | instskip(SKIP_1) | instid1(VALU_DEP_4)
	v_cmp_eq_u32_e64 s2, s11, v4
	v_cndmask_b32_e64 v10, 0, -1, vcc_lo
	v_cmp_le_u32_e32 vcc_lo, s11, v6
	v_cndmask_b32_e64 v11, 0, -1, vcc_lo
	v_cmp_le_u32_e32 vcc_lo, s10, v3
	;; [unrolled: 2-line block ×3, first 2 shown]
	v_cndmask_b32_e64 v12, 0, -1, vcc_lo
	v_cmp_eq_u32_e32 vcc_lo, s11, v6
	s_delay_alu instid0(VALU_DEP_2) | instskip(SKIP_3) | instid1(VALU_DEP_3)
	v_cndmask_b32_e64 v3, v12, v3, s2
	v_cndmask_b32_e32 v6, v11, v10, vcc_lo
	v_add_co_u32 v10, vcc_lo, v0, 1
	v_add_co_ci_u32_e32 v11, vcc_lo, 0, v5, vcc_lo
	v_cmp_ne_u32_e32 vcc_lo, 0, v6
	s_delay_alu instid0(VALU_DEP_2) | instskip(NEXT) | instid1(VALU_DEP_4)
	v_cndmask_b32_e32 v4, v11, v8, vcc_lo
	v_cndmask_b32_e32 v6, v10, v7, vcc_lo
	v_cmp_ne_u32_e32 vcc_lo, 0, v3
	v_xor_b32_e32 v7, s4, v9
	s_delay_alu instid0(VALU_DEP_3) | instskip(NEXT) | instid1(VALU_DEP_1)
	v_dual_cndmask_b32 v0, v0, v6 :: v_dual_cndmask_b32 v3, v5, v4
	v_xor_b32_e32 v0, v0, v7
	s_delay_alu instid0(VALU_DEP_2) | instskip(NEXT) | instid1(VALU_DEP_2)
	v_xor_b32_e32 v4, v3, v7
	v_sub_co_u32 v3, vcc_lo, v0, v7
	s_delay_alu instid0(VALU_DEP_2)
	v_sub_co_ci_u32_e32 v4, vcc_lo, v4, v7, vcc_lo
.LBB44_3:
	s_and_not1_saveexec_b32 s2, s13
	s_cbranch_execz .LBB44_5
; %bb.4:
	v_cvt_f32_u32_e32 v0, s8
	s_sub_i32 s4, 0, s8
	s_delay_alu instid0(VALU_DEP_1) | instskip(SKIP_2) | instid1(VALU_DEP_1)
	v_rcp_iflag_f32_e32 v0, v0
	s_waitcnt_depctr 0xfff
	v_mul_f32_e32 v0, 0x4f7ffffe, v0
	v_cvt_u32_f32_e32 v0, v0
	s_delay_alu instid0(VALU_DEP_1) | instskip(NEXT) | instid1(VALU_DEP_1)
	v_mul_lo_u32 v3, s4, v0
	v_mul_hi_u32 v3, v0, v3
	s_delay_alu instid0(VALU_DEP_1) | instskip(NEXT) | instid1(VALU_DEP_1)
	v_add_nc_u32_e32 v0, v0, v3
	v_mul_hi_u32 v0, v1, v0
	s_delay_alu instid0(VALU_DEP_1) | instskip(SKIP_1) | instid1(VALU_DEP_2)
	v_mul_lo_u32 v3, v0, s8
	v_add_nc_u32_e32 v4, 1, v0
	v_sub_nc_u32_e32 v3, v1, v3
	s_delay_alu instid0(VALU_DEP_1) | instskip(SKIP_1) | instid1(VALU_DEP_2)
	v_subrev_nc_u32_e32 v5, s8, v3
	v_cmp_le_u32_e32 vcc_lo, s8, v3
	v_dual_cndmask_b32 v3, v3, v5 :: v_dual_cndmask_b32 v0, v0, v4
	s_delay_alu instid0(VALU_DEP_1) | instskip(NEXT) | instid1(VALU_DEP_2)
	v_cmp_le_u32_e32 vcc_lo, s8, v3
	v_add_nc_u32_e32 v4, 1, v0
	s_delay_alu instid0(VALU_DEP_1)
	v_dual_cndmask_b32 v3, v0, v4 :: v_dual_mov_b32 v4, 0
.LBB44_5:
	s_or_b32 exec_lo, exec_lo, s2
	s_delay_alu instid0(VALU_DEP_1) | instskip(SKIP_1) | instid1(VALU_DEP_1)
	v_or_b32_e32 v6, s7, v4
	v_mov_b32_e32 v5, 0
	v_cmp_ne_u64_e32 vcc_lo, 0, v[5:6]
                                        ; implicit-def: $vgpr5_vgpr6
	s_and_saveexec_b32 s2, vcc_lo
	s_delay_alu instid0(SALU_CYCLE_1)
	s_xor_b32 s10, exec_lo, s2
	s_cbranch_execz .LBB44_7
; %bb.6:
	s_ashr_i32 s4, s7, 31
	s_delay_alu instid0(SALU_CYCLE_1) | instskip(SKIP_2) | instid1(SALU_CYCLE_1)
	s_add_u32 s16, s6, s4
	s_mov_b32 s5, s4
	s_addc_u32 s17, s7, s4
	s_xor_b64 s[4:5], s[16:17], s[4:5]
	s_delay_alu instid0(SALU_CYCLE_1) | instskip(SKIP_3) | instid1(VALU_DEP_1)
	v_cvt_f32_u32_e32 v0, s4
	v_cvt_f32_u32_e32 v5, s5
	s_sub_u32 s2, 0, s4
	s_subb_u32 s7, 0, s5
	v_fmamk_f32 v0, v5, 0x4f800000, v0
	s_delay_alu instid0(VALU_DEP_1) | instskip(SKIP_2) | instid1(VALU_DEP_1)
	v_rcp_f32_e32 v0, v0
	s_waitcnt_depctr 0xfff
	v_mul_f32_e32 v0, 0x5f7ffffc, v0
	v_mul_f32_e32 v5, 0x2f800000, v0
	s_delay_alu instid0(VALU_DEP_1) | instskip(NEXT) | instid1(VALU_DEP_1)
	v_trunc_f32_e32 v5, v5
	v_fmamk_f32 v0, v5, 0xcf800000, v0
	v_cvt_u32_f32_e32 v5, v5
	s_delay_alu instid0(VALU_DEP_2) | instskip(NEXT) | instid1(VALU_DEP_2)
	v_cvt_u32_f32_e32 v0, v0
	v_mul_lo_u32 v6, s2, v5
	s_delay_alu instid0(VALU_DEP_2) | instskip(SKIP_1) | instid1(VALU_DEP_2)
	v_mul_hi_u32 v7, s2, v0
	v_mul_lo_u32 v8, s7, v0
	v_add_nc_u32_e32 v6, v7, v6
	v_mul_lo_u32 v7, s2, v0
	s_delay_alu instid0(VALU_DEP_2) | instskip(NEXT) | instid1(VALU_DEP_2)
	v_add_nc_u32_e32 v6, v6, v8
	v_mul_hi_u32 v8, v0, v7
	s_delay_alu instid0(VALU_DEP_2)
	v_mul_lo_u32 v9, v0, v6
	v_mul_hi_u32 v10, v0, v6
	v_mul_hi_u32 v11, v5, v7
	v_mul_lo_u32 v7, v5, v7
	v_mul_hi_u32 v12, v5, v6
	v_mul_lo_u32 v6, v5, v6
	v_add_co_u32 v8, vcc_lo, v8, v9
	v_add_co_ci_u32_e32 v9, vcc_lo, 0, v10, vcc_lo
	s_delay_alu instid0(VALU_DEP_2) | instskip(NEXT) | instid1(VALU_DEP_2)
	v_add_co_u32 v7, vcc_lo, v8, v7
	v_add_co_ci_u32_e32 v7, vcc_lo, v9, v11, vcc_lo
	v_add_co_ci_u32_e32 v8, vcc_lo, 0, v12, vcc_lo
	v_ashrrev_i32_e32 v11, 31, v4
	s_delay_alu instid0(VALU_DEP_3) | instskip(NEXT) | instid1(VALU_DEP_3)
	v_add_co_u32 v6, vcc_lo, v7, v6
	v_add_co_ci_u32_e32 v7, vcc_lo, 0, v8, vcc_lo
	s_delay_alu instid0(VALU_DEP_2) | instskip(NEXT) | instid1(VALU_DEP_2)
	v_add_co_u32 v0, vcc_lo, v0, v6
	v_add_co_ci_u32_e32 v5, vcc_lo, v5, v7, vcc_lo
	s_delay_alu instid0(VALU_DEP_2) | instskip(SKIP_1) | instid1(VALU_DEP_3)
	v_mul_hi_u32 v6, s2, v0
	v_mul_lo_u32 v8, s7, v0
	v_mul_lo_u32 v7, s2, v5
	s_delay_alu instid0(VALU_DEP_1) | instskip(SKIP_1) | instid1(VALU_DEP_2)
	v_add_nc_u32_e32 v6, v6, v7
	v_mul_lo_u32 v7, s2, v0
	v_add_nc_u32_e32 v6, v6, v8
	s_delay_alu instid0(VALU_DEP_2) | instskip(NEXT) | instid1(VALU_DEP_2)
	v_mul_hi_u32 v8, v0, v7
	v_mul_lo_u32 v9, v0, v6
	v_mul_hi_u32 v10, v0, v6
	v_mul_hi_u32 v12, v5, v7
	v_mul_lo_u32 v7, v5, v7
	v_mul_hi_u32 v13, v5, v6
	v_mul_lo_u32 v6, v5, v6
	v_add_co_u32 v8, vcc_lo, v8, v9
	v_add_co_ci_u32_e32 v9, vcc_lo, 0, v10, vcc_lo
	s_delay_alu instid0(VALU_DEP_2) | instskip(NEXT) | instid1(VALU_DEP_2)
	v_add_co_u32 v7, vcc_lo, v8, v7
	v_add_co_ci_u32_e32 v7, vcc_lo, v9, v12, vcc_lo
	v_add_co_ci_u32_e32 v8, vcc_lo, 0, v13, vcc_lo
	v_add_co_u32 v9, vcc_lo, v3, v11
	v_add_co_ci_u32_e32 v10, vcc_lo, v4, v11, vcc_lo
	s_delay_alu instid0(VALU_DEP_4) | instskip(NEXT) | instid1(VALU_DEP_4)
	v_add_co_u32 v6, vcc_lo, v7, v6
	v_add_co_ci_u32_e32 v7, vcc_lo, 0, v8, vcc_lo
	s_delay_alu instid0(VALU_DEP_4) | instskip(NEXT) | instid1(VALU_DEP_3)
	v_xor_b32_e32 v12, v9, v11
	v_add_co_u32 v0, vcc_lo, v0, v6
	s_delay_alu instid0(VALU_DEP_3) | instskip(SKIP_1) | instid1(VALU_DEP_3)
	v_add_co_ci_u32_e32 v13, vcc_lo, v5, v7, vcc_lo
	v_xor_b32_e32 v14, v10, v11
	v_mul_hi_u32 v15, v12, v0
	s_delay_alu instid0(VALU_DEP_3) | instskip(NEXT) | instid1(VALU_DEP_3)
	v_mad_u64_u32 v[5:6], null, v12, v13, 0
	v_mad_u64_u32 v[7:8], null, v14, v0, 0
	v_mad_u64_u32 v[9:10], null, v14, v13, 0
	s_delay_alu instid0(VALU_DEP_3) | instskip(NEXT) | instid1(VALU_DEP_4)
	v_add_co_u32 v0, vcc_lo, v15, v5
	v_add_co_ci_u32_e32 v5, vcc_lo, 0, v6, vcc_lo
	s_delay_alu instid0(VALU_DEP_2) | instskip(NEXT) | instid1(VALU_DEP_2)
	v_add_co_u32 v0, vcc_lo, v0, v7
	v_add_co_ci_u32_e32 v0, vcc_lo, v5, v8, vcc_lo
	v_add_co_ci_u32_e32 v5, vcc_lo, 0, v10, vcc_lo
	s_delay_alu instid0(VALU_DEP_2) | instskip(NEXT) | instid1(VALU_DEP_2)
	v_add_co_u32 v0, vcc_lo, v0, v9
	v_add_co_ci_u32_e32 v7, vcc_lo, 0, v5, vcc_lo
	s_delay_alu instid0(VALU_DEP_2) | instskip(SKIP_1) | instid1(VALU_DEP_3)
	v_mul_lo_u32 v8, s5, v0
	v_mad_u64_u32 v[5:6], null, s4, v0, 0
	v_mul_lo_u32 v0, s4, v7
	s_delay_alu instid0(VALU_DEP_2) | instskip(NEXT) | instid1(VALU_DEP_2)
	v_sub_co_u32 v5, vcc_lo, v12, v5
	v_add3_u32 v0, v6, v0, v8
	s_delay_alu instid0(VALU_DEP_1) | instskip(NEXT) | instid1(VALU_DEP_1)
	v_sub_nc_u32_e32 v6, v14, v0
	v_subrev_co_ci_u32_e64 v6, s2, s5, v6, vcc_lo
	s_delay_alu instid0(VALU_DEP_4) | instskip(SKIP_1) | instid1(VALU_DEP_3)
	v_sub_co_u32 v7, s2, v5, s4
	v_sub_co_ci_u32_e32 v0, vcc_lo, v14, v0, vcc_lo
	v_subrev_co_ci_u32_e64 v6, s2, 0, v6, s2
	s_delay_alu instid0(VALU_DEP_3) | instskip(SKIP_1) | instid1(VALU_DEP_3)
	v_cmp_le_u32_e32 vcc_lo, s4, v7
	v_cndmask_b32_e64 v8, 0, -1, vcc_lo
	v_cmp_le_u32_e32 vcc_lo, s5, v6
	v_cndmask_b32_e64 v9, 0, -1, vcc_lo
	;; [unrolled: 2-line block ×4, first 2 shown]
	v_cmp_eq_u32_e32 vcc_lo, s5, v6
	v_cndmask_b32_e32 v6, v9, v8, vcc_lo
	v_sub_co_u32 v8, vcc_lo, v7, s4
	v_cmp_eq_u32_e32 vcc_lo, s5, v0
	v_cndmask_b32_e32 v0, v12, v10, vcc_lo
	s_delay_alu instid0(VALU_DEP_4) | instskip(NEXT) | instid1(VALU_DEP_4)
	v_cmp_ne_u32_e32 vcc_lo, 0, v6
	v_cndmask_b32_e32 v6, v7, v8, vcc_lo
	s_delay_alu instid0(VALU_DEP_3) | instskip(NEXT) | instid1(VALU_DEP_2)
	v_cmp_ne_u32_e32 vcc_lo, 0, v0
	v_cndmask_b32_e32 v0, v5, v6, vcc_lo
	s_delay_alu instid0(VALU_DEP_1) | instskip(NEXT) | instid1(VALU_DEP_1)
	v_xor_b32_e32 v0, v0, v11
	v_sub_co_u32 v5, vcc_lo, v0, v11
.LBB44_7:
	s_and_not1_saveexec_b32 s2, s10
	s_cbranch_execz .LBB44_9
; %bb.8:
	v_cvt_f32_u32_e32 v0, s6
	s_sub_i32 s4, 0, s6
	s_delay_alu instid0(VALU_DEP_1) | instskip(SKIP_2) | instid1(VALU_DEP_1)
	v_rcp_iflag_f32_e32 v0, v0
	s_waitcnt_depctr 0xfff
	v_mul_f32_e32 v0, 0x4f7ffffe, v0
	v_cvt_u32_f32_e32 v0, v0
	s_delay_alu instid0(VALU_DEP_1) | instskip(NEXT) | instid1(VALU_DEP_1)
	v_mul_lo_u32 v5, s4, v0
	v_mul_hi_u32 v5, v0, v5
	s_delay_alu instid0(VALU_DEP_1) | instskip(NEXT) | instid1(VALU_DEP_1)
	v_add_nc_u32_e32 v0, v0, v5
	v_mul_hi_u32 v0, v3, v0
	s_delay_alu instid0(VALU_DEP_1) | instskip(NEXT) | instid1(VALU_DEP_1)
	v_mul_lo_u32 v0, v0, s6
	v_sub_nc_u32_e32 v0, v3, v0
	s_delay_alu instid0(VALU_DEP_1) | instskip(SKIP_1) | instid1(VALU_DEP_2)
	v_subrev_nc_u32_e32 v5, s6, v0
	v_cmp_le_u32_e32 vcc_lo, s6, v0
	v_cndmask_b32_e32 v0, v0, v5, vcc_lo
	s_delay_alu instid0(VALU_DEP_1) | instskip(SKIP_1) | instid1(VALU_DEP_2)
	v_subrev_nc_u32_e32 v5, s6, v0
	v_cmp_le_u32_e32 vcc_lo, s6, v0
	v_cndmask_b32_e32 v5, v0, v5, vcc_lo
.LBB44_9:
	s_or_b32 exec_lo, exec_lo, s2
	v_or_b32_e32 v7, s12, v2
	v_mov_b32_e32 v6, 0
	s_delay_alu instid0(VALU_DEP_1) | instskip(SKIP_1) | instid1(SALU_CYCLE_1)
	v_cmp_ne_u64_e32 vcc_lo, 0, v[6:7]
                                        ; implicit-def: $vgpr6_vgpr7
	s_and_saveexec_b32 s2, vcc_lo
	s_xor_b32 s10, exec_lo, s2
	s_cbranch_execz .LBB44_11
; %bb.10:
	s_ashr_i32 s4, s12, 31
	s_delay_alu instid0(SALU_CYCLE_1) | instskip(SKIP_2) | instid1(SALU_CYCLE_1)
	s_add_u32 s6, s3, s4
	s_mov_b32 s5, s4
	s_addc_u32 s7, s12, s4
	s_xor_b64 s[6:7], s[6:7], s[4:5]
	s_delay_alu instid0(SALU_CYCLE_1) | instskip(SKIP_3) | instid1(VALU_DEP_1)
	v_cvt_f32_u32_e32 v0, s6
	v_cvt_f32_u32_e32 v6, s7
	s_sub_u32 s2, 0, s6
	s_subb_u32 s5, 0, s7
	v_fmamk_f32 v0, v6, 0x4f800000, v0
	s_delay_alu instid0(VALU_DEP_1) | instskip(SKIP_2) | instid1(VALU_DEP_1)
	v_rcp_f32_e32 v0, v0
	s_waitcnt_depctr 0xfff
	v_mul_f32_e32 v0, 0x5f7ffffc, v0
	v_mul_f32_e32 v6, 0x2f800000, v0
	s_delay_alu instid0(VALU_DEP_1) | instskip(NEXT) | instid1(VALU_DEP_1)
	v_trunc_f32_e32 v6, v6
	v_fmamk_f32 v0, v6, 0xcf800000, v0
	v_cvt_u32_f32_e32 v6, v6
	s_delay_alu instid0(VALU_DEP_2) | instskip(NEXT) | instid1(VALU_DEP_2)
	v_cvt_u32_f32_e32 v0, v0
	v_mul_lo_u32 v7, s2, v6
	s_delay_alu instid0(VALU_DEP_2) | instskip(SKIP_1) | instid1(VALU_DEP_2)
	v_mul_hi_u32 v8, s2, v0
	v_mul_lo_u32 v9, s5, v0
	v_add_nc_u32_e32 v7, v8, v7
	v_mul_lo_u32 v8, s2, v0
	s_delay_alu instid0(VALU_DEP_2) | instskip(NEXT) | instid1(VALU_DEP_2)
	v_add_nc_u32_e32 v7, v7, v9
	v_mul_hi_u32 v9, v0, v8
	s_delay_alu instid0(VALU_DEP_2)
	v_mul_lo_u32 v10, v0, v7
	v_mul_hi_u32 v11, v0, v7
	v_mul_hi_u32 v12, v6, v8
	v_mul_lo_u32 v8, v6, v8
	v_mul_hi_u32 v13, v6, v7
	v_mul_lo_u32 v7, v6, v7
	v_add_co_u32 v9, vcc_lo, v9, v10
	v_add_co_ci_u32_e32 v10, vcc_lo, 0, v11, vcc_lo
	s_delay_alu instid0(VALU_DEP_2) | instskip(NEXT) | instid1(VALU_DEP_2)
	v_add_co_u32 v8, vcc_lo, v9, v8
	v_add_co_ci_u32_e32 v8, vcc_lo, v10, v12, vcc_lo
	v_add_co_ci_u32_e32 v9, vcc_lo, 0, v13, vcc_lo
	v_mov_b32_e32 v12, v2
	s_delay_alu instid0(VALU_DEP_3) | instskip(NEXT) | instid1(VALU_DEP_3)
	v_add_co_u32 v7, vcc_lo, v8, v7
	v_add_co_ci_u32_e32 v8, vcc_lo, 0, v9, vcc_lo
	v_mov_b32_e32 v13, v2
	s_delay_alu instid0(VALU_DEP_3) | instskip(NEXT) | instid1(VALU_DEP_3)
	v_add_co_u32 v0, vcc_lo, v0, v7
	v_add_co_ci_u32_e32 v6, vcc_lo, v6, v8, vcc_lo
	s_delay_alu instid0(VALU_DEP_2) | instskip(SKIP_1) | instid1(VALU_DEP_3)
	v_mul_hi_u32 v7, s2, v0
	v_mul_lo_u32 v9, s5, v0
	v_mul_lo_u32 v8, s2, v6
	s_delay_alu instid0(VALU_DEP_1) | instskip(SKIP_1) | instid1(VALU_DEP_2)
	v_add_nc_u32_e32 v7, v7, v8
	v_mul_lo_u32 v8, s2, v0
	v_add_nc_u32_e32 v7, v7, v9
	s_delay_alu instid0(VALU_DEP_2) | instskip(NEXT) | instid1(VALU_DEP_2)
	v_mul_hi_u32 v9, v0, v8
	v_mul_lo_u32 v10, v0, v7
	v_mul_hi_u32 v11, v0, v7
	v_mul_hi_u32 v14, v6, v8
	v_mul_lo_u32 v8, v6, v8
	v_mul_hi_u32 v15, v6, v7
	v_mul_lo_u32 v7, v6, v7
	v_add_co_u32 v9, vcc_lo, v9, v10
	v_add_co_ci_u32_e32 v10, vcc_lo, 0, v11, vcc_lo
	s_delay_alu instid0(VALU_DEP_2) | instskip(NEXT) | instid1(VALU_DEP_2)
	v_add_co_u32 v8, vcc_lo, v9, v8
	v_add_co_ci_u32_e32 v8, vcc_lo, v10, v14, vcc_lo
	v_add_co_ci_u32_e32 v9, vcc_lo, 0, v15, vcc_lo
	v_add_co_u32 v10, vcc_lo, v1, v12
	v_add_co_ci_u32_e32 v11, vcc_lo, v2, v13, vcc_lo
	s_delay_alu instid0(VALU_DEP_4) | instskip(NEXT) | instid1(VALU_DEP_4)
	v_add_co_u32 v7, vcc_lo, v8, v7
	v_add_co_ci_u32_e32 v8, vcc_lo, 0, v9, vcc_lo
	s_delay_alu instid0(VALU_DEP_4) | instskip(NEXT) | instid1(VALU_DEP_3)
	v_xor_b32_e32 v14, v10, v12
	v_add_co_u32 v0, vcc_lo, v0, v7
	s_delay_alu instid0(VALU_DEP_3) | instskip(SKIP_1) | instid1(VALU_DEP_3)
	v_add_co_ci_u32_e32 v15, vcc_lo, v6, v8, vcc_lo
	v_xor_b32_e32 v13, v11, v13
	v_mul_hi_u32 v16, v14, v0
	s_delay_alu instid0(VALU_DEP_3) | instskip(NEXT) | instid1(VALU_DEP_3)
	v_mad_u64_u32 v[6:7], null, v14, v15, 0
	v_mad_u64_u32 v[8:9], null, v13, v0, 0
	;; [unrolled: 1-line block ×3, first 2 shown]
	s_delay_alu instid0(VALU_DEP_3) | instskip(NEXT) | instid1(VALU_DEP_4)
	v_add_co_u32 v0, vcc_lo, v16, v6
	v_add_co_ci_u32_e32 v6, vcc_lo, 0, v7, vcc_lo
	s_delay_alu instid0(VALU_DEP_2) | instskip(NEXT) | instid1(VALU_DEP_2)
	v_add_co_u32 v0, vcc_lo, v0, v8
	v_add_co_ci_u32_e32 v0, vcc_lo, v6, v9, vcc_lo
	v_add_co_ci_u32_e32 v6, vcc_lo, 0, v11, vcc_lo
	s_delay_alu instid0(VALU_DEP_2) | instskip(NEXT) | instid1(VALU_DEP_2)
	v_add_co_u32 v0, vcc_lo, v0, v10
	v_add_co_ci_u32_e32 v8, vcc_lo, 0, v6, vcc_lo
	s_delay_alu instid0(VALU_DEP_2) | instskip(SKIP_1) | instid1(VALU_DEP_3)
	v_mul_lo_u32 v9, s7, v0
	v_mad_u64_u32 v[6:7], null, s6, v0, 0
	v_mul_lo_u32 v8, s6, v8
	s_delay_alu instid0(VALU_DEP_2) | instskip(NEXT) | instid1(VALU_DEP_2)
	v_sub_co_u32 v6, vcc_lo, v14, v6
	v_add3_u32 v7, v7, v8, v9
	v_add_co_u32 v9, s2, v0, 2
	s_delay_alu instid0(VALU_DEP_2) | instskip(NEXT) | instid1(VALU_DEP_1)
	v_sub_nc_u32_e32 v8, v13, v7
	v_subrev_co_ci_u32_e64 v8, s2, s7, v8, vcc_lo
	v_sub_co_u32 v10, s2, v6, s6
	v_sub_co_ci_u32_e32 v7, vcc_lo, v13, v7, vcc_lo
	s_delay_alu instid0(VALU_DEP_3) | instskip(NEXT) | instid1(VALU_DEP_3)
	v_subrev_co_ci_u32_e64 v8, s2, 0, v8, s2
	v_cmp_le_u32_e32 vcc_lo, s6, v10
	v_cndmask_b32_e64 v10, 0, -1, vcc_lo
	s_delay_alu instid0(VALU_DEP_3)
	v_cmp_le_u32_e32 vcc_lo, s7, v8
	v_cndmask_b32_e64 v11, 0, -1, vcc_lo
	v_cmp_le_u32_e32 vcc_lo, s6, v6
	v_cndmask_b32_e64 v6, 0, -1, vcc_lo
	;; [unrolled: 2-line block ×3, first 2 shown]
	v_cmp_eq_u32_e32 vcc_lo, s7, v8
	v_cndmask_b32_e32 v8, v11, v10, vcc_lo
	v_add_co_u32 v10, vcc_lo, v0, 1
	v_cmp_eq_u32_e32 vcc_lo, s7, v7
	v_cndmask_b32_e32 v6, v13, v6, vcc_lo
	s_delay_alu instid0(VALU_DEP_4) | instskip(NEXT) | instid1(VALU_DEP_4)
	v_cmp_ne_u32_e32 vcc_lo, 0, v8
	v_cndmask_b32_e32 v7, v10, v9, vcc_lo
	s_delay_alu instid0(VALU_DEP_3) | instskip(SKIP_1) | instid1(VALU_DEP_3)
	v_cmp_ne_u32_e32 vcc_lo, 0, v6
	v_xor_b32_e32 v6, s4, v12
	v_cndmask_b32_e32 v0, v0, v7, vcc_lo
	s_delay_alu instid0(VALU_DEP_1) | instskip(NEXT) | instid1(VALU_DEP_1)
	v_xor_b32_e32 v0, v0, v6
	v_sub_co_u32 v6, vcc_lo, v0, v6
.LBB44_11:
	s_and_not1_saveexec_b32 s2, s10
	s_cbranch_execz .LBB44_13
; %bb.12:
	v_cvt_f32_u32_e32 v0, s3
	s_sub_i32 s4, 0, s3
	s_delay_alu instid0(VALU_DEP_1) | instskip(SKIP_2) | instid1(VALU_DEP_1)
	v_rcp_iflag_f32_e32 v0, v0
	s_waitcnt_depctr 0xfff
	v_mul_f32_e32 v0, 0x4f7ffffe, v0
	v_cvt_u32_f32_e32 v0, v0
	s_delay_alu instid0(VALU_DEP_1) | instskip(NEXT) | instid1(VALU_DEP_1)
	v_mul_lo_u32 v6, s4, v0
	v_mul_hi_u32 v6, v0, v6
	s_delay_alu instid0(VALU_DEP_1) | instskip(NEXT) | instid1(VALU_DEP_1)
	v_add_nc_u32_e32 v0, v0, v6
	v_mul_hi_u32 v0, v1, v0
	s_delay_alu instid0(VALU_DEP_1) | instskip(SKIP_1) | instid1(VALU_DEP_2)
	v_mul_lo_u32 v6, v0, s3
	v_add_nc_u32_e32 v7, 1, v0
	v_sub_nc_u32_e32 v6, v1, v6
	s_delay_alu instid0(VALU_DEP_1) | instskip(SKIP_1) | instid1(VALU_DEP_2)
	v_subrev_nc_u32_e32 v8, s3, v6
	v_cmp_le_u32_e32 vcc_lo, s3, v6
	v_cndmask_b32_e32 v6, v6, v8, vcc_lo
	v_cndmask_b32_e32 v0, v0, v7, vcc_lo
	s_delay_alu instid0(VALU_DEP_2) | instskip(NEXT) | instid1(VALU_DEP_2)
	v_cmp_le_u32_e32 vcc_lo, s3, v6
	v_add_nc_u32_e32 v7, 1, v0
	s_delay_alu instid0(VALU_DEP_1)
	v_cndmask_b32_e32 v6, v0, v7, vcc_lo
.LBB44_13:
	s_or_b32 exec_lo, exec_lo, s2
	s_clause 0x2
	s_load_b32 s10, s[0:1], 0xc0
	s_load_b128 s[4:7], s[0:1], 0xb0
	s_load_b512 s[16:31], s[0:1], 0x18
	v_mul_lo_u32 v0, v4, s8
	v_mul_lo_u32 v4, v3, s9
	v_mad_u64_u32 v[7:8], null, v3, s8, 0
	s_load_b64 s[2:3], s[0:1], 0xa8
	s_delay_alu instid0(VALU_DEP_1) | instskip(NEXT) | instid1(VALU_DEP_2)
	v_add3_u32 v0, v8, v4, v0
	v_sub_co_u32 v9, vcc_lo, v1, v7
	s_delay_alu instid0(VALU_DEP_2)
	v_sub_co_ci_u32_e32 v4, vcc_lo, v2, v0, vcc_lo
	s_waitcnt lgkmcnt(0)
	s_add_i32 s15, s15, s10
	s_add_i32 s14, s14, s7
	;; [unrolled: 1-line block ×3, first 2 shown]
	s_sub_i32 s7, 0, s6
	s_add_i32 s18, s18, -1
	s_sub_i32 s8, 0, s5
	s_add_i32 s19, s6, s20
	s_max_i32 s11, s5, 0
	v_maxmin_i32 v1, s5, v5, s18
	s_add_i32 s5, s4, s16
	s_max_i32 s10, s6, 0
	s_max_i32 s7, s7, 0
	s_max_i32 s12, s8, 0
	s_add_i32 s19, s19, -1
	s_add_i32 s5, s5, -1
	s_sub_i32 s9, 0, s4
	v_maxmin_i32 v0, s6, v9, s19
	s_sub_i32 s6, s7, s10
	s_sub_i32 s7, s12, s11
	s_ashr_i32 s12, s15, 31
	v_maxmin_i32 v2, s4, v6, s5
	s_max_i32 s13, s9, 0
	s_max_i32 s17, s4, 0
	s_load_b64 s[8:9], s[0:1], 0x0
	s_mul_i32 s10, s22, s12
	s_mul_hi_u32 s11, s22, s15
	v_add_nc_u32_e32 v7, s7, v1
	s_add_i32 s4, s11, s10
	s_sub_i32 s10, s13, s17
	s_mul_i32 s5, s23, s15
	v_add_nc_u32_e32 v2, s10, v2
	v_add_nc_u32_e32 v10, s6, v0
	v_ashrrev_i32_e32 v3, 31, v7
	s_add_i32 s5, s4, s5
	s_mul_i32 s4, s22, s15
	v_ashrrev_i32_e32 v1, 31, v2
	v_mul_lo_u32 v11, s27, v2
	s_lshl_b64 s[4:5], s[4:5], 1
	v_mul_lo_u32 v12, s28, v3
	v_mul_lo_u32 v13, s29, v7
	;; [unrolled: 1-line block ×3, first 2 shown]
	v_mad_u64_u32 v[0:1], null, s26, v2, 0
	v_ashrrev_i32_e32 v14, 31, v10
	v_mad_u64_u32 v[2:3], null, s28, v7, 0
	s_waitcnt lgkmcnt(0)
	s_add_u32 s7, s8, s4
	s_addc_u32 s8, s9, s5
	s_ashr_i32 s13, s14, 31
	s_delay_alu instid0(VALU_DEP_3)
	v_add3_u32 v1, v1, v8, v11
	s_mul_i32 s4, s24, s13
	s_mul_hi_u32 s5, s24, s14
	v_mul_lo_u32 v11, s30, v14
	v_mul_lo_u32 v14, s31, v10
	v_mad_u64_u32 v[7:8], null, s30, v10, 0
	s_add_i32 s4, s5, s4
	s_mul_i32 s5, s25, s14
	v_add3_u32 v3, v3, v12, v13
	s_add_i32 s5, s4, s5
	s_mul_i32 s4, s24, s14
	v_lshlrev_b64 v[0:1], 1, v[0:1]
	s_lshl_b64 s[4:5], s[4:5], 1
	v_lshlrev_b64 v[2:3], 1, v[2:3]
	s_add_u32 s4, s7, s4
	v_add3_u32 v8, v8, v11, v14
	s_addc_u32 s5, s8, s5
	v_add_co_u32 v10, vcc_lo, s4, v0
	v_add_co_ci_u32_e32 v11, vcc_lo, s5, v1, vcc_lo
	s_delay_alu instid0(VALU_DEP_3) | instskip(NEXT) | instid1(VALU_DEP_3)
	v_lshlrev_b64 v[0:1], 1, v[7:8]
	v_add_co_u32 v2, vcc_lo, v10, v2
	s_delay_alu instid0(VALU_DEP_3) | instskip(NEXT) | instid1(VALU_DEP_2)
	v_add_co_ci_u32_e32 v3, vcc_lo, v11, v3, vcc_lo
	v_add_co_u32 v0, vcc_lo, v2, v0
	s_delay_alu instid0(VALU_DEP_2)
	v_add_co_ci_u32_e32 v1, vcc_lo, v3, v1, vcc_lo
	v_ashrrev_i32_e32 v2, 31, v5
	global_load_u16 v7, v[0:1], off
	s_clause 0x1
	s_load_b256 s[4:11], s[0:1], 0x88
	s_load_b64 s[0:1], s[0:1], 0x58
	v_ashrrev_i32_e32 v0, 31, v6
	s_waitcnt lgkmcnt(0)
	s_mul_i32 s12, s4, s12
	s_mul_hi_u32 s16, s4, s15
	v_mul_lo_u32 v8, s9, v6
	v_mul_lo_u32 v10, s8, v0
	v_mad_u64_u32 v[0:1], null, s8, v6, 0
	s_add_i32 s12, s16, s12
	s_mul_i32 s5, s5, s15
	s_mul_i32 s4, s4, s15
	s_add_i32 s5, s12, s5
	v_mul_lo_u32 v6, s11, v5
	v_mul_lo_u32 v11, s10, v2
	v_mad_u64_u32 v[2:3], null, s10, v5, 0
	s_lshl_b64 s[4:5], s[4:5], 1
	v_add3_u32 v1, v1, v10, v8
	s_add_u32 s4, s0, s4
	s_addc_u32 s5, s1, s5
	s_mul_i32 s0, s6, s13
	s_mul_hi_u32 s1, s6, s14
	v_mul_lo_u32 v8, s3, v9
	v_mul_lo_u32 v10, s2, v4
	v_mad_u64_u32 v[4:5], null, s2, v9, 0
	s_add_i32 s0, s1, s0
	s_mul_i32 s1, s7, s14
	v_add3_u32 v3, v3, v11, v6
	s_add_i32 s1, s0, s1
	s_mul_i32 s0, s6, s14
	v_lshlrev_b64 v[0:1], 1, v[0:1]
	s_lshl_b64 s[0:1], s[0:1], 1
	v_lshlrev_b64 v[2:3], 1, v[2:3]
	s_add_u32 s0, s4, s0
	v_add3_u32 v5, v5, v10, v8
	s_addc_u32 s1, s5, s1
	v_add_co_u32 v6, vcc_lo, s0, v0
	v_add_co_ci_u32_e32 v8, vcc_lo, s1, v1, vcc_lo
	s_delay_alu instid0(VALU_DEP_3) | instskip(NEXT) | instid1(VALU_DEP_3)
	v_lshlrev_b64 v[0:1], 1, v[4:5]
	v_add_co_u32 v2, vcc_lo, v6, v2
	s_delay_alu instid0(VALU_DEP_3) | instskip(NEXT) | instid1(VALU_DEP_2)
	v_add_co_ci_u32_e32 v3, vcc_lo, v8, v3, vcc_lo
	v_add_co_u32 v0, vcc_lo, v2, v0
	s_delay_alu instid0(VALU_DEP_2)
	v_add_co_ci_u32_e32 v1, vcc_lo, v3, v1, vcc_lo
	s_waitcnt vmcnt(0)
	global_store_b16 v[0:1], v7, off
.LBB44_14:
	s_nop 0
	s_sendmsg sendmsg(MSG_DEALLOC_VGPRS)
	s_endpgm
	.section	.rodata,"a",@progbits
	.p2align	6, 0x0
	.amdhsa_kernel _ZN2at6native12_GLOBAL__N_132replication_pad_forward_kernel3dIsEEvN5torch10headeronly6detail27GenericPackedTensorAccessorINS5_14TensorAccessorIN3c108ArrayRefIlEEKT_Lm4ENS4_16DefaultPtrTraitsElEENS_6detail16IndexBoundsCheckILm5ElEESC_Lm5ESD_lEENS6_INS7_ISA_SB_Lm4ESD_lEESH_SB_Lm5ESD_lEEiiiii
		.amdhsa_group_segment_fixed_size 0
		.amdhsa_private_segment_fixed_size 0
		.amdhsa_kernarg_size 456
		.amdhsa_user_sgpr_count 13
		.amdhsa_user_sgpr_dispatch_ptr 0
		.amdhsa_user_sgpr_queue_ptr 0
		.amdhsa_user_sgpr_kernarg_segment_ptr 1
		.amdhsa_user_sgpr_dispatch_id 0
		.amdhsa_user_sgpr_private_segment_size 0
		.amdhsa_wavefront_size32 1
		.amdhsa_uses_dynamic_stack 0
		.amdhsa_enable_private_segment 0
		.amdhsa_system_sgpr_workgroup_id_x 1
		.amdhsa_system_sgpr_workgroup_id_y 1
		.amdhsa_system_sgpr_workgroup_id_z 1
		.amdhsa_system_sgpr_workgroup_info 0
		.amdhsa_system_vgpr_workitem_id 0
		.amdhsa_next_free_vgpr 17
		.amdhsa_next_free_sgpr 32
		.amdhsa_reserve_vcc 1
		.amdhsa_float_round_mode_32 0
		.amdhsa_float_round_mode_16_64 0
		.amdhsa_float_denorm_mode_32 3
		.amdhsa_float_denorm_mode_16_64 3
		.amdhsa_dx10_clamp 1
		.amdhsa_ieee_mode 1
		.amdhsa_fp16_overflow 0
		.amdhsa_workgroup_processor_mode 1
		.amdhsa_memory_ordered 1
		.amdhsa_forward_progress 0
		.amdhsa_shared_vgpr_count 0
		.amdhsa_exception_fp_ieee_invalid_op 0
		.amdhsa_exception_fp_denorm_src 0
		.amdhsa_exception_fp_ieee_div_zero 0
		.amdhsa_exception_fp_ieee_overflow 0
		.amdhsa_exception_fp_ieee_underflow 0
		.amdhsa_exception_fp_ieee_inexact 0
		.amdhsa_exception_int_div_zero 0
	.end_amdhsa_kernel
	.section	.text._ZN2at6native12_GLOBAL__N_132replication_pad_forward_kernel3dIsEEvN5torch10headeronly6detail27GenericPackedTensorAccessorINS5_14TensorAccessorIN3c108ArrayRefIlEEKT_Lm4ENS4_16DefaultPtrTraitsElEENS_6detail16IndexBoundsCheckILm5ElEESC_Lm5ESD_lEENS6_INS7_ISA_SB_Lm4ESD_lEESH_SB_Lm5ESD_lEEiiiii,"axG",@progbits,_ZN2at6native12_GLOBAL__N_132replication_pad_forward_kernel3dIsEEvN5torch10headeronly6detail27GenericPackedTensorAccessorINS5_14TensorAccessorIN3c108ArrayRefIlEEKT_Lm4ENS4_16DefaultPtrTraitsElEENS_6detail16IndexBoundsCheckILm5ElEESC_Lm5ESD_lEENS6_INS7_ISA_SB_Lm4ESD_lEESH_SB_Lm5ESD_lEEiiiii,comdat
.Lfunc_end44:
	.size	_ZN2at6native12_GLOBAL__N_132replication_pad_forward_kernel3dIsEEvN5torch10headeronly6detail27GenericPackedTensorAccessorINS5_14TensorAccessorIN3c108ArrayRefIlEEKT_Lm4ENS4_16DefaultPtrTraitsElEENS_6detail16IndexBoundsCheckILm5ElEESC_Lm5ESD_lEENS6_INS7_ISA_SB_Lm4ESD_lEESH_SB_Lm5ESD_lEEiiiii, .Lfunc_end44-_ZN2at6native12_GLOBAL__N_132replication_pad_forward_kernel3dIsEEvN5torch10headeronly6detail27GenericPackedTensorAccessorINS5_14TensorAccessorIN3c108ArrayRefIlEEKT_Lm4ENS4_16DefaultPtrTraitsElEENS_6detail16IndexBoundsCheckILm5ElEESC_Lm5ESD_lEENS6_INS7_ISA_SB_Lm4ESD_lEESH_SB_Lm5ESD_lEEiiiii
                                        ; -- End function
	.section	.AMDGPU.csdata,"",@progbits
; Kernel info:
; codeLenInByte = 3796
; NumSgprs: 34
; NumVgprs: 17
; ScratchSize: 0
; MemoryBound: 0
; FloatMode: 240
; IeeeMode: 1
; LDSByteSize: 0 bytes/workgroup (compile time only)
; SGPRBlocks: 4
; VGPRBlocks: 2
; NumSGPRsForWavesPerEU: 34
; NumVGPRsForWavesPerEU: 17
; Occupancy: 16
; WaveLimiterHint : 1
; COMPUTE_PGM_RSRC2:SCRATCH_EN: 0
; COMPUTE_PGM_RSRC2:USER_SGPR: 13
; COMPUTE_PGM_RSRC2:TRAP_HANDLER: 0
; COMPUTE_PGM_RSRC2:TGID_X_EN: 1
; COMPUTE_PGM_RSRC2:TGID_Y_EN: 1
; COMPUTE_PGM_RSRC2:TGID_Z_EN: 1
; COMPUTE_PGM_RSRC2:TIDIG_COMP_CNT: 0
	.section	.text._ZN2at6native12_GLOBAL__N_132replication_pad_forward_kernel3dIdEEvN5torch10headeronly6detail27GenericPackedTensorAccessorINS5_14TensorAccessorIN3c108ArrayRefIlEEKT_Lm4ENS4_16DefaultPtrTraitsElEENS_6detail16IndexBoundsCheckILm5ElEESC_Lm5ESD_lEENS6_INS7_ISA_SB_Lm4ESD_lEESH_SB_Lm5ESD_lEEiiiii,"axG",@progbits,_ZN2at6native12_GLOBAL__N_132replication_pad_forward_kernel3dIdEEvN5torch10headeronly6detail27GenericPackedTensorAccessorINS5_14TensorAccessorIN3c108ArrayRefIlEEKT_Lm4ENS4_16DefaultPtrTraitsElEENS_6detail16IndexBoundsCheckILm5ElEESC_Lm5ESD_lEENS6_INS7_ISA_SB_Lm4ESD_lEESH_SB_Lm5ESD_lEEiiiii,comdat
	.globl	_ZN2at6native12_GLOBAL__N_132replication_pad_forward_kernel3dIdEEvN5torch10headeronly6detail27GenericPackedTensorAccessorINS5_14TensorAccessorIN3c108ArrayRefIlEEKT_Lm4ENS4_16DefaultPtrTraitsElEENS_6detail16IndexBoundsCheckILm5ElEESC_Lm5ESD_lEENS6_INS7_ISA_SB_Lm4ESD_lEESH_SB_Lm5ESD_lEEiiiii ; -- Begin function _ZN2at6native12_GLOBAL__N_132replication_pad_forward_kernel3dIdEEvN5torch10headeronly6detail27GenericPackedTensorAccessorINS5_14TensorAccessorIN3c108ArrayRefIlEEKT_Lm4ENS4_16DefaultPtrTraitsElEENS_6detail16IndexBoundsCheckILm5ElEESC_Lm5ESD_lEENS6_INS7_ISA_SB_Lm4ESD_lEESH_SB_Lm5ESD_lEEiiiii
	.p2align	8
	.type	_ZN2at6native12_GLOBAL__N_132replication_pad_forward_kernel3dIdEEvN5torch10headeronly6detail27GenericPackedTensorAccessorINS5_14TensorAccessorIN3c108ArrayRefIlEEKT_Lm4ENS4_16DefaultPtrTraitsElEENS_6detail16IndexBoundsCheckILm5ElEESC_Lm5ESD_lEENS6_INS7_ISA_SB_Lm4ESD_lEESH_SB_Lm5ESD_lEEiiiii,@function
_ZN2at6native12_GLOBAL__N_132replication_pad_forward_kernel3dIdEEvN5torch10headeronly6detail27GenericPackedTensorAccessorINS5_14TensorAccessorIN3c108ArrayRefIlEEKT_Lm4ENS4_16DefaultPtrTraitsElEENS_6detail16IndexBoundsCheckILm5ElEESC_Lm5ESD_lEENS6_INS7_ISA_SB_Lm4ESD_lEESH_SB_Lm5ESD_lEEiiiii: ; @_ZN2at6native12_GLOBAL__N_132replication_pad_forward_kernel3dIdEEvN5torch10headeronly6detail27GenericPackedTensorAccessorINS5_14TensorAccessorIN3c108ArrayRefIlEEKT_Lm4ENS4_16DefaultPtrTraitsElEENS_6detail16IndexBoundsCheckILm5ElEESC_Lm5ESD_lEENS6_INS7_ISA_SB_Lm4ESD_lEESH_SB_Lm5ESD_lEEiiiii
; %bb.0:
	s_clause 0x2
	s_load_b32 s2, s[0:1], 0xd4
	s_load_b128 s[4:7], s[0:1], 0x70
	s_load_b64 s[8:9], s[0:1], 0x80
	s_waitcnt lgkmcnt(0)
	s_and_b32 s2, s2, 0xffff
	s_delay_alu instid0(SALU_CYCLE_1)
	v_mad_u64_u32 v[1:2], null, s13, s2, v[0:1]
	s_mul_i32 s10, s8, s7
	s_mul_hi_u32 s11, s8, s6
	s_mul_i32 s2, s9, s6
	s_mul_i32 s3, s8, s6
	s_add_i32 s12, s11, s10
	s_mul_i32 s5, s3, s5
	s_mul_hi_u32 s10, s3, s4
	s_add_i32 s12, s12, s2
	v_ashrrev_i32_e32 v2, 31, v1
	s_add_i32 s2, s10, s5
	s_mul_i32 s5, s12, s4
	s_mul_i32 s4, s3, s4
	s_add_i32 s5, s2, s5
	s_mov_b32 s2, exec_lo
	v_cmpx_gt_i64_e64 s[4:5], v[1:2]
	s_cbranch_execz .LBB45_14
; %bb.1:
	v_or_b32_e32 v4, s9, v2
	v_mov_b32_e32 v3, 0
	s_delay_alu instid0(VALU_DEP_1) | instskip(SKIP_1) | instid1(SALU_CYCLE_1)
	v_cmp_ne_u64_e32 vcc_lo, 0, v[3:4]
                                        ; implicit-def: $vgpr3_vgpr4
	s_and_saveexec_b32 s2, vcc_lo
	s_xor_b32 s13, exec_lo, s2
	s_cbranch_execz .LBB45_3
; %bb.2:
	s_ashr_i32 s4, s9, 31
	s_delay_alu instid0(SALU_CYCLE_1) | instskip(SKIP_2) | instid1(SALU_CYCLE_1)
	s_add_u32 s10, s8, s4
	s_mov_b32 s5, s4
	s_addc_u32 s11, s9, s4
	s_xor_b64 s[10:11], s[10:11], s[4:5]
	s_delay_alu instid0(SALU_CYCLE_1) | instskip(SKIP_3) | instid1(VALU_DEP_1)
	v_cvt_f32_u32_e32 v0, s10
	v_cvt_f32_u32_e32 v3, s11
	s_sub_u32 s2, 0, s10
	s_subb_u32 s5, 0, s11
	v_fmamk_f32 v0, v3, 0x4f800000, v0
	s_delay_alu instid0(VALU_DEP_1) | instskip(SKIP_2) | instid1(VALU_DEP_1)
	v_rcp_f32_e32 v0, v0
	s_waitcnt_depctr 0xfff
	v_mul_f32_e32 v0, 0x5f7ffffc, v0
	v_mul_f32_e32 v3, 0x2f800000, v0
	s_delay_alu instid0(VALU_DEP_1) | instskip(NEXT) | instid1(VALU_DEP_1)
	v_trunc_f32_e32 v3, v3
	v_fmamk_f32 v0, v3, 0xcf800000, v0
	v_cvt_u32_f32_e32 v3, v3
	s_delay_alu instid0(VALU_DEP_2) | instskip(NEXT) | instid1(VALU_DEP_2)
	v_cvt_u32_f32_e32 v0, v0
	v_mul_lo_u32 v4, s2, v3
	s_delay_alu instid0(VALU_DEP_2) | instskip(SKIP_1) | instid1(VALU_DEP_2)
	v_mul_hi_u32 v5, s2, v0
	v_mul_lo_u32 v6, s5, v0
	v_add_nc_u32_e32 v4, v5, v4
	v_mul_lo_u32 v5, s2, v0
	s_delay_alu instid0(VALU_DEP_2) | instskip(NEXT) | instid1(VALU_DEP_2)
	v_add_nc_u32_e32 v4, v4, v6
	v_mul_hi_u32 v6, v0, v5
	s_delay_alu instid0(VALU_DEP_2)
	v_mul_lo_u32 v7, v0, v4
	v_mul_hi_u32 v8, v0, v4
	v_mul_hi_u32 v9, v3, v5
	v_mul_lo_u32 v5, v3, v5
	v_mul_hi_u32 v10, v3, v4
	v_mul_lo_u32 v4, v3, v4
	v_add_co_u32 v6, vcc_lo, v6, v7
	v_add_co_ci_u32_e32 v7, vcc_lo, 0, v8, vcc_lo
	s_delay_alu instid0(VALU_DEP_2) | instskip(NEXT) | instid1(VALU_DEP_2)
	v_add_co_u32 v5, vcc_lo, v6, v5
	v_add_co_ci_u32_e32 v5, vcc_lo, v7, v9, vcc_lo
	v_add_co_ci_u32_e32 v6, vcc_lo, 0, v10, vcc_lo
	v_ashrrev_i32_e32 v9, 31, v2
	s_delay_alu instid0(VALU_DEP_3) | instskip(NEXT) | instid1(VALU_DEP_3)
	v_add_co_u32 v4, vcc_lo, v5, v4
	v_add_co_ci_u32_e32 v5, vcc_lo, 0, v6, vcc_lo
	s_delay_alu instid0(VALU_DEP_2) | instskip(NEXT) | instid1(VALU_DEP_2)
	v_add_co_u32 v0, vcc_lo, v0, v4
	v_add_co_ci_u32_e32 v3, vcc_lo, v3, v5, vcc_lo
	s_delay_alu instid0(VALU_DEP_2) | instskip(SKIP_1) | instid1(VALU_DEP_3)
	v_mul_hi_u32 v4, s2, v0
	v_mul_lo_u32 v6, s5, v0
	v_mul_lo_u32 v5, s2, v3
	s_delay_alu instid0(VALU_DEP_1) | instskip(SKIP_1) | instid1(VALU_DEP_2)
	v_add_nc_u32_e32 v4, v4, v5
	v_mul_lo_u32 v5, s2, v0
	v_add_nc_u32_e32 v4, v4, v6
	s_delay_alu instid0(VALU_DEP_2) | instskip(NEXT) | instid1(VALU_DEP_2)
	v_mul_hi_u32 v6, v0, v5
	v_mul_lo_u32 v7, v0, v4
	v_mul_hi_u32 v8, v0, v4
	v_mul_hi_u32 v10, v3, v5
	v_mul_lo_u32 v5, v3, v5
	v_mul_hi_u32 v11, v3, v4
	v_mul_lo_u32 v4, v3, v4
	v_add_co_u32 v6, vcc_lo, v6, v7
	v_add_co_ci_u32_e32 v7, vcc_lo, 0, v8, vcc_lo
	s_delay_alu instid0(VALU_DEP_2) | instskip(NEXT) | instid1(VALU_DEP_2)
	v_add_co_u32 v5, vcc_lo, v6, v5
	v_add_co_ci_u32_e32 v5, vcc_lo, v7, v10, vcc_lo
	v_add_co_ci_u32_e32 v6, vcc_lo, 0, v11, vcc_lo
	v_add_co_u32 v7, vcc_lo, v1, v9
	v_add_co_ci_u32_e32 v8, vcc_lo, v2, v9, vcc_lo
	s_delay_alu instid0(VALU_DEP_4) | instskip(NEXT) | instid1(VALU_DEP_4)
	v_add_co_u32 v4, vcc_lo, v5, v4
	v_add_co_ci_u32_e32 v5, vcc_lo, 0, v6, vcc_lo
	s_delay_alu instid0(VALU_DEP_4) | instskip(NEXT) | instid1(VALU_DEP_3)
	v_xor_b32_e32 v10, v7, v9
	v_add_co_u32 v0, vcc_lo, v0, v4
	s_delay_alu instid0(VALU_DEP_3) | instskip(SKIP_1) | instid1(VALU_DEP_3)
	v_add_co_ci_u32_e32 v11, vcc_lo, v3, v5, vcc_lo
	v_xor_b32_e32 v12, v8, v9
	v_mul_hi_u32 v13, v10, v0
	s_delay_alu instid0(VALU_DEP_3) | instskip(NEXT) | instid1(VALU_DEP_3)
	v_mad_u64_u32 v[3:4], null, v10, v11, 0
	v_mad_u64_u32 v[5:6], null, v12, v0, 0
	;; [unrolled: 1-line block ×3, first 2 shown]
	s_delay_alu instid0(VALU_DEP_3) | instskip(NEXT) | instid1(VALU_DEP_4)
	v_add_co_u32 v0, vcc_lo, v13, v3
	v_add_co_ci_u32_e32 v3, vcc_lo, 0, v4, vcc_lo
	s_delay_alu instid0(VALU_DEP_2) | instskip(NEXT) | instid1(VALU_DEP_2)
	v_add_co_u32 v0, vcc_lo, v0, v5
	v_add_co_ci_u32_e32 v0, vcc_lo, v3, v6, vcc_lo
	v_add_co_ci_u32_e32 v3, vcc_lo, 0, v8, vcc_lo
	s_delay_alu instid0(VALU_DEP_2) | instskip(NEXT) | instid1(VALU_DEP_2)
	v_add_co_u32 v0, vcc_lo, v0, v7
	v_add_co_ci_u32_e32 v5, vcc_lo, 0, v3, vcc_lo
	s_delay_alu instid0(VALU_DEP_2) | instskip(SKIP_1) | instid1(VALU_DEP_3)
	v_mul_lo_u32 v6, s11, v0
	v_mad_u64_u32 v[3:4], null, s10, v0, 0
	v_mul_lo_u32 v7, s10, v5
	s_delay_alu instid0(VALU_DEP_2) | instskip(NEXT) | instid1(VALU_DEP_2)
	v_sub_co_u32 v3, vcc_lo, v10, v3
	v_add3_u32 v4, v4, v7, v6
	s_delay_alu instid0(VALU_DEP_1) | instskip(NEXT) | instid1(VALU_DEP_1)
	v_sub_nc_u32_e32 v6, v12, v4
	v_subrev_co_ci_u32_e64 v6, s2, s11, v6, vcc_lo
	v_add_co_u32 v7, s2, v0, 2
	s_delay_alu instid0(VALU_DEP_1) | instskip(SKIP_3) | instid1(VALU_DEP_3)
	v_add_co_ci_u32_e64 v8, s2, 0, v5, s2
	v_sub_co_u32 v10, s2, v3, s10
	v_sub_co_ci_u32_e32 v4, vcc_lo, v12, v4, vcc_lo
	v_subrev_co_ci_u32_e64 v6, s2, 0, v6, s2
	v_cmp_le_u32_e32 vcc_lo, s10, v10
	s_delay_alu instid0(VALU_DEP_3) | instskip(SKIP_1) | instid1(VALU_DEP_4)
	v_cmp_eq_u32_e64 s2, s11, v4
	v_cndmask_b32_e64 v10, 0, -1, vcc_lo
	v_cmp_le_u32_e32 vcc_lo, s11, v6
	v_cndmask_b32_e64 v11, 0, -1, vcc_lo
	v_cmp_le_u32_e32 vcc_lo, s10, v3
	;; [unrolled: 2-line block ×3, first 2 shown]
	v_cndmask_b32_e64 v12, 0, -1, vcc_lo
	v_cmp_eq_u32_e32 vcc_lo, s11, v6
	s_delay_alu instid0(VALU_DEP_2) | instskip(SKIP_3) | instid1(VALU_DEP_3)
	v_cndmask_b32_e64 v3, v12, v3, s2
	v_cndmask_b32_e32 v6, v11, v10, vcc_lo
	v_add_co_u32 v10, vcc_lo, v0, 1
	v_add_co_ci_u32_e32 v11, vcc_lo, 0, v5, vcc_lo
	v_cmp_ne_u32_e32 vcc_lo, 0, v6
	s_delay_alu instid0(VALU_DEP_2) | instskip(NEXT) | instid1(VALU_DEP_4)
	v_cndmask_b32_e32 v4, v11, v8, vcc_lo
	v_cndmask_b32_e32 v6, v10, v7, vcc_lo
	v_cmp_ne_u32_e32 vcc_lo, 0, v3
	v_xor_b32_e32 v7, s4, v9
	s_delay_alu instid0(VALU_DEP_3) | instskip(NEXT) | instid1(VALU_DEP_1)
	v_dual_cndmask_b32 v0, v0, v6 :: v_dual_cndmask_b32 v3, v5, v4
	v_xor_b32_e32 v0, v0, v7
	s_delay_alu instid0(VALU_DEP_2) | instskip(NEXT) | instid1(VALU_DEP_2)
	v_xor_b32_e32 v4, v3, v7
	v_sub_co_u32 v3, vcc_lo, v0, v7
	s_delay_alu instid0(VALU_DEP_2)
	v_sub_co_ci_u32_e32 v4, vcc_lo, v4, v7, vcc_lo
.LBB45_3:
	s_and_not1_saveexec_b32 s2, s13
	s_cbranch_execz .LBB45_5
; %bb.4:
	v_cvt_f32_u32_e32 v0, s8
	s_sub_i32 s4, 0, s8
	s_delay_alu instid0(VALU_DEP_1) | instskip(SKIP_2) | instid1(VALU_DEP_1)
	v_rcp_iflag_f32_e32 v0, v0
	s_waitcnt_depctr 0xfff
	v_mul_f32_e32 v0, 0x4f7ffffe, v0
	v_cvt_u32_f32_e32 v0, v0
	s_delay_alu instid0(VALU_DEP_1) | instskip(NEXT) | instid1(VALU_DEP_1)
	v_mul_lo_u32 v3, s4, v0
	v_mul_hi_u32 v3, v0, v3
	s_delay_alu instid0(VALU_DEP_1) | instskip(NEXT) | instid1(VALU_DEP_1)
	v_add_nc_u32_e32 v0, v0, v3
	v_mul_hi_u32 v0, v1, v0
	s_delay_alu instid0(VALU_DEP_1) | instskip(SKIP_1) | instid1(VALU_DEP_2)
	v_mul_lo_u32 v3, v0, s8
	v_add_nc_u32_e32 v4, 1, v0
	v_sub_nc_u32_e32 v3, v1, v3
	s_delay_alu instid0(VALU_DEP_1) | instskip(SKIP_1) | instid1(VALU_DEP_2)
	v_subrev_nc_u32_e32 v5, s8, v3
	v_cmp_le_u32_e32 vcc_lo, s8, v3
	v_dual_cndmask_b32 v3, v3, v5 :: v_dual_cndmask_b32 v0, v0, v4
	s_delay_alu instid0(VALU_DEP_1) | instskip(NEXT) | instid1(VALU_DEP_2)
	v_cmp_le_u32_e32 vcc_lo, s8, v3
	v_add_nc_u32_e32 v4, 1, v0
	s_delay_alu instid0(VALU_DEP_1)
	v_dual_cndmask_b32 v3, v0, v4 :: v_dual_mov_b32 v4, 0
.LBB45_5:
	s_or_b32 exec_lo, exec_lo, s2
	s_delay_alu instid0(VALU_DEP_1) | instskip(SKIP_1) | instid1(VALU_DEP_1)
	v_or_b32_e32 v6, s7, v4
	v_mov_b32_e32 v5, 0
	v_cmp_ne_u64_e32 vcc_lo, 0, v[5:6]
                                        ; implicit-def: $vgpr5_vgpr6
	s_and_saveexec_b32 s2, vcc_lo
	s_delay_alu instid0(SALU_CYCLE_1)
	s_xor_b32 s10, exec_lo, s2
	s_cbranch_execz .LBB45_7
; %bb.6:
	s_ashr_i32 s4, s7, 31
	s_delay_alu instid0(SALU_CYCLE_1) | instskip(SKIP_2) | instid1(SALU_CYCLE_1)
	s_add_u32 s16, s6, s4
	s_mov_b32 s5, s4
	s_addc_u32 s17, s7, s4
	s_xor_b64 s[4:5], s[16:17], s[4:5]
	s_delay_alu instid0(SALU_CYCLE_1) | instskip(SKIP_3) | instid1(VALU_DEP_1)
	v_cvt_f32_u32_e32 v0, s4
	v_cvt_f32_u32_e32 v5, s5
	s_sub_u32 s2, 0, s4
	s_subb_u32 s7, 0, s5
	v_fmamk_f32 v0, v5, 0x4f800000, v0
	s_delay_alu instid0(VALU_DEP_1) | instskip(SKIP_2) | instid1(VALU_DEP_1)
	v_rcp_f32_e32 v0, v0
	s_waitcnt_depctr 0xfff
	v_mul_f32_e32 v0, 0x5f7ffffc, v0
	v_mul_f32_e32 v5, 0x2f800000, v0
	s_delay_alu instid0(VALU_DEP_1) | instskip(NEXT) | instid1(VALU_DEP_1)
	v_trunc_f32_e32 v5, v5
	v_fmamk_f32 v0, v5, 0xcf800000, v0
	v_cvt_u32_f32_e32 v5, v5
	s_delay_alu instid0(VALU_DEP_2) | instskip(NEXT) | instid1(VALU_DEP_2)
	v_cvt_u32_f32_e32 v0, v0
	v_mul_lo_u32 v6, s2, v5
	s_delay_alu instid0(VALU_DEP_2) | instskip(SKIP_1) | instid1(VALU_DEP_2)
	v_mul_hi_u32 v7, s2, v0
	v_mul_lo_u32 v8, s7, v0
	v_add_nc_u32_e32 v6, v7, v6
	v_mul_lo_u32 v7, s2, v0
	s_delay_alu instid0(VALU_DEP_2) | instskip(NEXT) | instid1(VALU_DEP_2)
	v_add_nc_u32_e32 v6, v6, v8
	v_mul_hi_u32 v8, v0, v7
	s_delay_alu instid0(VALU_DEP_2)
	v_mul_lo_u32 v9, v0, v6
	v_mul_hi_u32 v10, v0, v6
	v_mul_hi_u32 v11, v5, v7
	v_mul_lo_u32 v7, v5, v7
	v_mul_hi_u32 v12, v5, v6
	v_mul_lo_u32 v6, v5, v6
	v_add_co_u32 v8, vcc_lo, v8, v9
	v_add_co_ci_u32_e32 v9, vcc_lo, 0, v10, vcc_lo
	s_delay_alu instid0(VALU_DEP_2) | instskip(NEXT) | instid1(VALU_DEP_2)
	v_add_co_u32 v7, vcc_lo, v8, v7
	v_add_co_ci_u32_e32 v7, vcc_lo, v9, v11, vcc_lo
	v_add_co_ci_u32_e32 v8, vcc_lo, 0, v12, vcc_lo
	v_ashrrev_i32_e32 v11, 31, v4
	s_delay_alu instid0(VALU_DEP_3) | instskip(NEXT) | instid1(VALU_DEP_3)
	v_add_co_u32 v6, vcc_lo, v7, v6
	v_add_co_ci_u32_e32 v7, vcc_lo, 0, v8, vcc_lo
	s_delay_alu instid0(VALU_DEP_2) | instskip(NEXT) | instid1(VALU_DEP_2)
	v_add_co_u32 v0, vcc_lo, v0, v6
	v_add_co_ci_u32_e32 v5, vcc_lo, v5, v7, vcc_lo
	s_delay_alu instid0(VALU_DEP_2) | instskip(SKIP_1) | instid1(VALU_DEP_3)
	v_mul_hi_u32 v6, s2, v0
	v_mul_lo_u32 v8, s7, v0
	v_mul_lo_u32 v7, s2, v5
	s_delay_alu instid0(VALU_DEP_1) | instskip(SKIP_1) | instid1(VALU_DEP_2)
	v_add_nc_u32_e32 v6, v6, v7
	v_mul_lo_u32 v7, s2, v0
	v_add_nc_u32_e32 v6, v6, v8
	s_delay_alu instid0(VALU_DEP_2) | instskip(NEXT) | instid1(VALU_DEP_2)
	v_mul_hi_u32 v8, v0, v7
	v_mul_lo_u32 v9, v0, v6
	v_mul_hi_u32 v10, v0, v6
	v_mul_hi_u32 v12, v5, v7
	v_mul_lo_u32 v7, v5, v7
	v_mul_hi_u32 v13, v5, v6
	v_mul_lo_u32 v6, v5, v6
	v_add_co_u32 v8, vcc_lo, v8, v9
	v_add_co_ci_u32_e32 v9, vcc_lo, 0, v10, vcc_lo
	s_delay_alu instid0(VALU_DEP_2) | instskip(NEXT) | instid1(VALU_DEP_2)
	v_add_co_u32 v7, vcc_lo, v8, v7
	v_add_co_ci_u32_e32 v7, vcc_lo, v9, v12, vcc_lo
	v_add_co_ci_u32_e32 v8, vcc_lo, 0, v13, vcc_lo
	v_add_co_u32 v9, vcc_lo, v3, v11
	v_add_co_ci_u32_e32 v10, vcc_lo, v4, v11, vcc_lo
	s_delay_alu instid0(VALU_DEP_4) | instskip(NEXT) | instid1(VALU_DEP_4)
	v_add_co_u32 v6, vcc_lo, v7, v6
	v_add_co_ci_u32_e32 v7, vcc_lo, 0, v8, vcc_lo
	s_delay_alu instid0(VALU_DEP_4) | instskip(NEXT) | instid1(VALU_DEP_3)
	v_xor_b32_e32 v12, v9, v11
	v_add_co_u32 v0, vcc_lo, v0, v6
	s_delay_alu instid0(VALU_DEP_3) | instskip(SKIP_1) | instid1(VALU_DEP_3)
	v_add_co_ci_u32_e32 v13, vcc_lo, v5, v7, vcc_lo
	v_xor_b32_e32 v14, v10, v11
	v_mul_hi_u32 v15, v12, v0
	s_delay_alu instid0(VALU_DEP_3) | instskip(NEXT) | instid1(VALU_DEP_3)
	v_mad_u64_u32 v[5:6], null, v12, v13, 0
	v_mad_u64_u32 v[7:8], null, v14, v0, 0
	;; [unrolled: 1-line block ×3, first 2 shown]
	s_delay_alu instid0(VALU_DEP_3) | instskip(NEXT) | instid1(VALU_DEP_4)
	v_add_co_u32 v0, vcc_lo, v15, v5
	v_add_co_ci_u32_e32 v5, vcc_lo, 0, v6, vcc_lo
	s_delay_alu instid0(VALU_DEP_2) | instskip(NEXT) | instid1(VALU_DEP_2)
	v_add_co_u32 v0, vcc_lo, v0, v7
	v_add_co_ci_u32_e32 v0, vcc_lo, v5, v8, vcc_lo
	v_add_co_ci_u32_e32 v5, vcc_lo, 0, v10, vcc_lo
	s_delay_alu instid0(VALU_DEP_2) | instskip(NEXT) | instid1(VALU_DEP_2)
	v_add_co_u32 v0, vcc_lo, v0, v9
	v_add_co_ci_u32_e32 v7, vcc_lo, 0, v5, vcc_lo
	s_delay_alu instid0(VALU_DEP_2) | instskip(SKIP_1) | instid1(VALU_DEP_3)
	v_mul_lo_u32 v8, s5, v0
	v_mad_u64_u32 v[5:6], null, s4, v0, 0
	v_mul_lo_u32 v0, s4, v7
	s_delay_alu instid0(VALU_DEP_2) | instskip(NEXT) | instid1(VALU_DEP_2)
	v_sub_co_u32 v5, vcc_lo, v12, v5
	v_add3_u32 v0, v6, v0, v8
	s_delay_alu instid0(VALU_DEP_1) | instskip(NEXT) | instid1(VALU_DEP_1)
	v_sub_nc_u32_e32 v6, v14, v0
	v_subrev_co_ci_u32_e64 v6, s2, s5, v6, vcc_lo
	s_delay_alu instid0(VALU_DEP_4) | instskip(SKIP_1) | instid1(VALU_DEP_3)
	v_sub_co_u32 v7, s2, v5, s4
	v_sub_co_ci_u32_e32 v0, vcc_lo, v14, v0, vcc_lo
	v_subrev_co_ci_u32_e64 v6, s2, 0, v6, s2
	s_delay_alu instid0(VALU_DEP_3) | instskip(SKIP_1) | instid1(VALU_DEP_3)
	v_cmp_le_u32_e32 vcc_lo, s4, v7
	v_cndmask_b32_e64 v8, 0, -1, vcc_lo
	v_cmp_le_u32_e32 vcc_lo, s5, v6
	v_cndmask_b32_e64 v9, 0, -1, vcc_lo
	v_cmp_le_u32_e32 vcc_lo, s4, v5
	v_cndmask_b32_e64 v10, 0, -1, vcc_lo
	v_cmp_le_u32_e32 vcc_lo, s5, v0
	v_cndmask_b32_e64 v12, 0, -1, vcc_lo
	v_cmp_eq_u32_e32 vcc_lo, s5, v6
	v_cndmask_b32_e32 v6, v9, v8, vcc_lo
	v_sub_co_u32 v8, vcc_lo, v7, s4
	v_cmp_eq_u32_e32 vcc_lo, s5, v0
	v_cndmask_b32_e32 v0, v12, v10, vcc_lo
	s_delay_alu instid0(VALU_DEP_4) | instskip(NEXT) | instid1(VALU_DEP_4)
	v_cmp_ne_u32_e32 vcc_lo, 0, v6
	v_cndmask_b32_e32 v6, v7, v8, vcc_lo
	s_delay_alu instid0(VALU_DEP_3) | instskip(NEXT) | instid1(VALU_DEP_2)
	v_cmp_ne_u32_e32 vcc_lo, 0, v0
	v_cndmask_b32_e32 v0, v5, v6, vcc_lo
	s_delay_alu instid0(VALU_DEP_1) | instskip(NEXT) | instid1(VALU_DEP_1)
	v_xor_b32_e32 v0, v0, v11
	v_sub_co_u32 v5, vcc_lo, v0, v11
.LBB45_7:
	s_and_not1_saveexec_b32 s2, s10
	s_cbranch_execz .LBB45_9
; %bb.8:
	v_cvt_f32_u32_e32 v0, s6
	s_sub_i32 s4, 0, s6
	s_delay_alu instid0(VALU_DEP_1) | instskip(SKIP_2) | instid1(VALU_DEP_1)
	v_rcp_iflag_f32_e32 v0, v0
	s_waitcnt_depctr 0xfff
	v_mul_f32_e32 v0, 0x4f7ffffe, v0
	v_cvt_u32_f32_e32 v0, v0
	s_delay_alu instid0(VALU_DEP_1) | instskip(NEXT) | instid1(VALU_DEP_1)
	v_mul_lo_u32 v5, s4, v0
	v_mul_hi_u32 v5, v0, v5
	s_delay_alu instid0(VALU_DEP_1) | instskip(NEXT) | instid1(VALU_DEP_1)
	v_add_nc_u32_e32 v0, v0, v5
	v_mul_hi_u32 v0, v3, v0
	s_delay_alu instid0(VALU_DEP_1) | instskip(NEXT) | instid1(VALU_DEP_1)
	v_mul_lo_u32 v0, v0, s6
	v_sub_nc_u32_e32 v0, v3, v0
	s_delay_alu instid0(VALU_DEP_1) | instskip(SKIP_1) | instid1(VALU_DEP_2)
	v_subrev_nc_u32_e32 v5, s6, v0
	v_cmp_le_u32_e32 vcc_lo, s6, v0
	v_cndmask_b32_e32 v0, v0, v5, vcc_lo
	s_delay_alu instid0(VALU_DEP_1) | instskip(SKIP_1) | instid1(VALU_DEP_2)
	v_subrev_nc_u32_e32 v5, s6, v0
	v_cmp_le_u32_e32 vcc_lo, s6, v0
	v_cndmask_b32_e32 v5, v0, v5, vcc_lo
.LBB45_9:
	s_or_b32 exec_lo, exec_lo, s2
	v_or_b32_e32 v7, s12, v2
	v_mov_b32_e32 v6, 0
	s_delay_alu instid0(VALU_DEP_1) | instskip(SKIP_1) | instid1(SALU_CYCLE_1)
	v_cmp_ne_u64_e32 vcc_lo, 0, v[6:7]
                                        ; implicit-def: $vgpr6_vgpr7
	s_and_saveexec_b32 s2, vcc_lo
	s_xor_b32 s10, exec_lo, s2
	s_cbranch_execz .LBB45_11
; %bb.10:
	s_ashr_i32 s4, s12, 31
	s_delay_alu instid0(SALU_CYCLE_1) | instskip(SKIP_2) | instid1(SALU_CYCLE_1)
	s_add_u32 s6, s3, s4
	s_mov_b32 s5, s4
	s_addc_u32 s7, s12, s4
	s_xor_b64 s[6:7], s[6:7], s[4:5]
	s_delay_alu instid0(SALU_CYCLE_1) | instskip(SKIP_3) | instid1(VALU_DEP_1)
	v_cvt_f32_u32_e32 v0, s6
	v_cvt_f32_u32_e32 v6, s7
	s_sub_u32 s2, 0, s6
	s_subb_u32 s5, 0, s7
	v_fmamk_f32 v0, v6, 0x4f800000, v0
	s_delay_alu instid0(VALU_DEP_1) | instskip(SKIP_2) | instid1(VALU_DEP_1)
	v_rcp_f32_e32 v0, v0
	s_waitcnt_depctr 0xfff
	v_mul_f32_e32 v0, 0x5f7ffffc, v0
	v_mul_f32_e32 v6, 0x2f800000, v0
	s_delay_alu instid0(VALU_DEP_1) | instskip(NEXT) | instid1(VALU_DEP_1)
	v_trunc_f32_e32 v6, v6
	v_fmamk_f32 v0, v6, 0xcf800000, v0
	v_cvt_u32_f32_e32 v6, v6
	s_delay_alu instid0(VALU_DEP_2) | instskip(NEXT) | instid1(VALU_DEP_2)
	v_cvt_u32_f32_e32 v0, v0
	v_mul_lo_u32 v7, s2, v6
	s_delay_alu instid0(VALU_DEP_2) | instskip(SKIP_1) | instid1(VALU_DEP_2)
	v_mul_hi_u32 v8, s2, v0
	v_mul_lo_u32 v9, s5, v0
	v_add_nc_u32_e32 v7, v8, v7
	v_mul_lo_u32 v8, s2, v0
	s_delay_alu instid0(VALU_DEP_2) | instskip(NEXT) | instid1(VALU_DEP_2)
	v_add_nc_u32_e32 v7, v7, v9
	v_mul_hi_u32 v9, v0, v8
	s_delay_alu instid0(VALU_DEP_2)
	v_mul_lo_u32 v10, v0, v7
	v_mul_hi_u32 v11, v0, v7
	v_mul_hi_u32 v12, v6, v8
	v_mul_lo_u32 v8, v6, v8
	v_mul_hi_u32 v13, v6, v7
	v_mul_lo_u32 v7, v6, v7
	v_add_co_u32 v9, vcc_lo, v9, v10
	v_add_co_ci_u32_e32 v10, vcc_lo, 0, v11, vcc_lo
	s_delay_alu instid0(VALU_DEP_2) | instskip(NEXT) | instid1(VALU_DEP_2)
	v_add_co_u32 v8, vcc_lo, v9, v8
	v_add_co_ci_u32_e32 v8, vcc_lo, v10, v12, vcc_lo
	v_add_co_ci_u32_e32 v9, vcc_lo, 0, v13, vcc_lo
	v_mov_b32_e32 v12, v2
	s_delay_alu instid0(VALU_DEP_3) | instskip(NEXT) | instid1(VALU_DEP_3)
	v_add_co_u32 v7, vcc_lo, v8, v7
	v_add_co_ci_u32_e32 v8, vcc_lo, 0, v9, vcc_lo
	v_mov_b32_e32 v13, v2
	s_delay_alu instid0(VALU_DEP_3) | instskip(NEXT) | instid1(VALU_DEP_3)
	v_add_co_u32 v0, vcc_lo, v0, v7
	v_add_co_ci_u32_e32 v6, vcc_lo, v6, v8, vcc_lo
	s_delay_alu instid0(VALU_DEP_2) | instskip(SKIP_1) | instid1(VALU_DEP_3)
	v_mul_hi_u32 v7, s2, v0
	v_mul_lo_u32 v9, s5, v0
	v_mul_lo_u32 v8, s2, v6
	s_delay_alu instid0(VALU_DEP_1) | instskip(SKIP_1) | instid1(VALU_DEP_2)
	v_add_nc_u32_e32 v7, v7, v8
	v_mul_lo_u32 v8, s2, v0
	v_add_nc_u32_e32 v7, v7, v9
	s_delay_alu instid0(VALU_DEP_2) | instskip(NEXT) | instid1(VALU_DEP_2)
	v_mul_hi_u32 v9, v0, v8
	v_mul_lo_u32 v10, v0, v7
	v_mul_hi_u32 v11, v0, v7
	v_mul_hi_u32 v14, v6, v8
	v_mul_lo_u32 v8, v6, v8
	v_mul_hi_u32 v15, v6, v7
	v_mul_lo_u32 v7, v6, v7
	v_add_co_u32 v9, vcc_lo, v9, v10
	v_add_co_ci_u32_e32 v10, vcc_lo, 0, v11, vcc_lo
	s_delay_alu instid0(VALU_DEP_2) | instskip(NEXT) | instid1(VALU_DEP_2)
	v_add_co_u32 v8, vcc_lo, v9, v8
	v_add_co_ci_u32_e32 v8, vcc_lo, v10, v14, vcc_lo
	v_add_co_ci_u32_e32 v9, vcc_lo, 0, v15, vcc_lo
	v_add_co_u32 v10, vcc_lo, v1, v12
	v_add_co_ci_u32_e32 v11, vcc_lo, v2, v13, vcc_lo
	s_delay_alu instid0(VALU_DEP_4) | instskip(NEXT) | instid1(VALU_DEP_4)
	v_add_co_u32 v7, vcc_lo, v8, v7
	v_add_co_ci_u32_e32 v8, vcc_lo, 0, v9, vcc_lo
	s_delay_alu instid0(VALU_DEP_4) | instskip(NEXT) | instid1(VALU_DEP_3)
	v_xor_b32_e32 v14, v10, v12
	v_add_co_u32 v0, vcc_lo, v0, v7
	s_delay_alu instid0(VALU_DEP_3) | instskip(SKIP_1) | instid1(VALU_DEP_3)
	v_add_co_ci_u32_e32 v15, vcc_lo, v6, v8, vcc_lo
	v_xor_b32_e32 v13, v11, v13
	v_mul_hi_u32 v16, v14, v0
	s_delay_alu instid0(VALU_DEP_3) | instskip(NEXT) | instid1(VALU_DEP_3)
	v_mad_u64_u32 v[6:7], null, v14, v15, 0
	v_mad_u64_u32 v[8:9], null, v13, v0, 0
	;; [unrolled: 1-line block ×3, first 2 shown]
	s_delay_alu instid0(VALU_DEP_3) | instskip(NEXT) | instid1(VALU_DEP_4)
	v_add_co_u32 v0, vcc_lo, v16, v6
	v_add_co_ci_u32_e32 v6, vcc_lo, 0, v7, vcc_lo
	s_delay_alu instid0(VALU_DEP_2) | instskip(NEXT) | instid1(VALU_DEP_2)
	v_add_co_u32 v0, vcc_lo, v0, v8
	v_add_co_ci_u32_e32 v0, vcc_lo, v6, v9, vcc_lo
	v_add_co_ci_u32_e32 v6, vcc_lo, 0, v11, vcc_lo
	s_delay_alu instid0(VALU_DEP_2) | instskip(NEXT) | instid1(VALU_DEP_2)
	v_add_co_u32 v0, vcc_lo, v0, v10
	v_add_co_ci_u32_e32 v8, vcc_lo, 0, v6, vcc_lo
	s_delay_alu instid0(VALU_DEP_2) | instskip(SKIP_1) | instid1(VALU_DEP_3)
	v_mul_lo_u32 v9, s7, v0
	v_mad_u64_u32 v[6:7], null, s6, v0, 0
	v_mul_lo_u32 v8, s6, v8
	s_delay_alu instid0(VALU_DEP_2) | instskip(NEXT) | instid1(VALU_DEP_2)
	v_sub_co_u32 v6, vcc_lo, v14, v6
	v_add3_u32 v7, v7, v8, v9
	v_add_co_u32 v9, s2, v0, 2
	s_delay_alu instid0(VALU_DEP_2) | instskip(NEXT) | instid1(VALU_DEP_1)
	v_sub_nc_u32_e32 v8, v13, v7
	v_subrev_co_ci_u32_e64 v8, s2, s7, v8, vcc_lo
	v_sub_co_u32 v10, s2, v6, s6
	v_sub_co_ci_u32_e32 v7, vcc_lo, v13, v7, vcc_lo
	s_delay_alu instid0(VALU_DEP_3) | instskip(NEXT) | instid1(VALU_DEP_3)
	v_subrev_co_ci_u32_e64 v8, s2, 0, v8, s2
	v_cmp_le_u32_e32 vcc_lo, s6, v10
	v_cndmask_b32_e64 v10, 0, -1, vcc_lo
	s_delay_alu instid0(VALU_DEP_3)
	v_cmp_le_u32_e32 vcc_lo, s7, v8
	v_cndmask_b32_e64 v11, 0, -1, vcc_lo
	v_cmp_le_u32_e32 vcc_lo, s6, v6
	v_cndmask_b32_e64 v6, 0, -1, vcc_lo
	;; [unrolled: 2-line block ×3, first 2 shown]
	v_cmp_eq_u32_e32 vcc_lo, s7, v8
	v_cndmask_b32_e32 v8, v11, v10, vcc_lo
	v_add_co_u32 v10, vcc_lo, v0, 1
	v_cmp_eq_u32_e32 vcc_lo, s7, v7
	v_cndmask_b32_e32 v6, v13, v6, vcc_lo
	s_delay_alu instid0(VALU_DEP_4) | instskip(NEXT) | instid1(VALU_DEP_4)
	v_cmp_ne_u32_e32 vcc_lo, 0, v8
	v_cndmask_b32_e32 v7, v10, v9, vcc_lo
	s_delay_alu instid0(VALU_DEP_3) | instskip(SKIP_1) | instid1(VALU_DEP_3)
	v_cmp_ne_u32_e32 vcc_lo, 0, v6
	v_xor_b32_e32 v6, s4, v12
	v_cndmask_b32_e32 v0, v0, v7, vcc_lo
	s_delay_alu instid0(VALU_DEP_1) | instskip(NEXT) | instid1(VALU_DEP_1)
	v_xor_b32_e32 v0, v0, v6
	v_sub_co_u32 v6, vcc_lo, v0, v6
.LBB45_11:
	s_and_not1_saveexec_b32 s2, s10
	s_cbranch_execz .LBB45_13
; %bb.12:
	v_cvt_f32_u32_e32 v0, s3
	s_sub_i32 s4, 0, s3
	s_delay_alu instid0(VALU_DEP_1) | instskip(SKIP_2) | instid1(VALU_DEP_1)
	v_rcp_iflag_f32_e32 v0, v0
	s_waitcnt_depctr 0xfff
	v_mul_f32_e32 v0, 0x4f7ffffe, v0
	v_cvt_u32_f32_e32 v0, v0
	s_delay_alu instid0(VALU_DEP_1) | instskip(NEXT) | instid1(VALU_DEP_1)
	v_mul_lo_u32 v6, s4, v0
	v_mul_hi_u32 v6, v0, v6
	s_delay_alu instid0(VALU_DEP_1) | instskip(NEXT) | instid1(VALU_DEP_1)
	v_add_nc_u32_e32 v0, v0, v6
	v_mul_hi_u32 v0, v1, v0
	s_delay_alu instid0(VALU_DEP_1) | instskip(SKIP_1) | instid1(VALU_DEP_2)
	v_mul_lo_u32 v6, v0, s3
	v_add_nc_u32_e32 v7, 1, v0
	v_sub_nc_u32_e32 v6, v1, v6
	s_delay_alu instid0(VALU_DEP_1) | instskip(SKIP_1) | instid1(VALU_DEP_2)
	v_subrev_nc_u32_e32 v8, s3, v6
	v_cmp_le_u32_e32 vcc_lo, s3, v6
	v_cndmask_b32_e32 v6, v6, v8, vcc_lo
	v_cndmask_b32_e32 v0, v0, v7, vcc_lo
	s_delay_alu instid0(VALU_DEP_2) | instskip(NEXT) | instid1(VALU_DEP_2)
	v_cmp_le_u32_e32 vcc_lo, s3, v6
	v_add_nc_u32_e32 v7, 1, v0
	s_delay_alu instid0(VALU_DEP_1)
	v_cndmask_b32_e32 v6, v0, v7, vcc_lo
.LBB45_13:
	s_or_b32 exec_lo, exec_lo, s2
	s_clause 0x2
	s_load_b32 s10, s[0:1], 0xc0
	s_load_b128 s[4:7], s[0:1], 0xb0
	s_load_b512 s[16:31], s[0:1], 0x18
	v_mul_lo_u32 v0, v4, s8
	v_mul_lo_u32 v4, v3, s9
	v_mad_u64_u32 v[7:8], null, v3, s8, 0
	s_load_b64 s[2:3], s[0:1], 0xa8
	s_delay_alu instid0(VALU_DEP_1) | instskip(NEXT) | instid1(VALU_DEP_2)
	v_add3_u32 v0, v8, v4, v0
	v_sub_co_u32 v9, vcc_lo, v1, v7
	s_delay_alu instid0(VALU_DEP_2)
	v_sub_co_ci_u32_e32 v4, vcc_lo, v2, v0, vcc_lo
	s_waitcnt lgkmcnt(0)
	s_add_i32 s15, s15, s10
	s_add_i32 s14, s14, s7
	;; [unrolled: 1-line block ×3, first 2 shown]
	s_sub_i32 s7, 0, s6
	s_add_i32 s18, s18, -1
	s_sub_i32 s8, 0, s5
	s_add_i32 s19, s6, s20
	s_max_i32 s11, s5, 0
	v_maxmin_i32 v1, s5, v5, s18
	s_add_i32 s5, s4, s16
	s_max_i32 s10, s6, 0
	s_max_i32 s7, s7, 0
	;; [unrolled: 1-line block ×3, first 2 shown]
	s_add_i32 s19, s19, -1
	s_add_i32 s5, s5, -1
	s_sub_i32 s9, 0, s4
	v_maxmin_i32 v0, s6, v9, s19
	s_sub_i32 s6, s7, s10
	s_sub_i32 s7, s12, s11
	s_ashr_i32 s12, s15, 31
	v_maxmin_i32 v2, s4, v6, s5
	s_max_i32 s13, s9, 0
	s_max_i32 s17, s4, 0
	s_load_b64 s[8:9], s[0:1], 0x0
	s_mul_i32 s10, s22, s12
	s_mul_hi_u32 s11, s22, s15
	v_add_nc_u32_e32 v7, s7, v1
	s_add_i32 s4, s11, s10
	s_sub_i32 s10, s13, s17
	s_mul_i32 s5, s23, s15
	v_add_nc_u32_e32 v2, s10, v2
	v_add_nc_u32_e32 v10, s6, v0
	v_ashrrev_i32_e32 v3, 31, v7
	s_add_i32 s5, s4, s5
	s_mul_i32 s4, s22, s15
	v_ashrrev_i32_e32 v1, 31, v2
	v_mul_lo_u32 v11, s27, v2
	s_lshl_b64 s[4:5], s[4:5], 3
	v_mul_lo_u32 v12, s28, v3
	v_mul_lo_u32 v13, s29, v7
	;; [unrolled: 1-line block ×3, first 2 shown]
	v_mad_u64_u32 v[0:1], null, s26, v2, 0
	v_ashrrev_i32_e32 v14, 31, v10
	v_mad_u64_u32 v[2:3], null, s28, v7, 0
	s_waitcnt lgkmcnt(0)
	s_add_u32 s7, s8, s4
	s_addc_u32 s8, s9, s5
	s_ashr_i32 s13, s14, 31
	s_delay_alu instid0(VALU_DEP_3)
	v_add3_u32 v1, v1, v8, v11
	s_mul_i32 s4, s24, s13
	s_mul_hi_u32 s5, s24, s14
	v_mul_lo_u32 v11, s30, v14
	v_mul_lo_u32 v14, s31, v10
	v_mad_u64_u32 v[7:8], null, s30, v10, 0
	s_add_i32 s4, s5, s4
	s_mul_i32 s5, s25, s14
	v_add3_u32 v3, v3, v12, v13
	s_add_i32 s5, s4, s5
	s_mul_i32 s4, s24, s14
	v_lshlrev_b64 v[0:1], 3, v[0:1]
	s_lshl_b64 s[4:5], s[4:5], 3
	v_lshlrev_b64 v[2:3], 3, v[2:3]
	s_add_u32 s4, s7, s4
	v_add3_u32 v8, v8, v11, v14
	s_addc_u32 s5, s8, s5
	v_add_co_u32 v10, vcc_lo, s4, v0
	v_add_co_ci_u32_e32 v11, vcc_lo, s5, v1, vcc_lo
	s_delay_alu instid0(VALU_DEP_3) | instskip(NEXT) | instid1(VALU_DEP_3)
	v_lshlrev_b64 v[0:1], 3, v[7:8]
	v_add_co_u32 v2, vcc_lo, v10, v2
	s_delay_alu instid0(VALU_DEP_3) | instskip(SKIP_1) | instid1(VALU_DEP_3)
	v_add_co_ci_u32_e32 v3, vcc_lo, v11, v3, vcc_lo
	v_ashrrev_i32_e32 v7, 31, v5
	v_add_co_u32 v0, vcc_lo, v2, v0
	s_delay_alu instid0(VALU_DEP_3)
	v_add_co_ci_u32_e32 v1, vcc_lo, v3, v1, vcc_lo
	v_ashrrev_i32_e32 v2, 31, v6
	global_load_b64 v[0:1], v[0:1], off
	s_clause 0x1
	s_load_b256 s[4:11], s[0:1], 0x88
	s_load_b64 s[0:1], s[0:1], 0x58
	s_waitcnt lgkmcnt(0)
	s_mul_i32 s12, s4, s12
	s_mul_hi_u32 s16, s4, s15
	v_mul_lo_u32 v8, s9, v6
	v_mul_lo_u32 v10, s8, v2
	v_mad_u64_u32 v[2:3], null, s8, v6, 0
	s_add_i32 s12, s16, s12
	s_mul_i32 s5, s5, s15
	s_mul_i32 s4, s4, s15
	s_add_i32 s5, s12, s5
	v_mul_lo_u32 v11, s11, v5
	v_mul_lo_u32 v12, s10, v7
	v_mad_u64_u32 v[6:7], null, s10, v5, 0
	s_lshl_b64 s[4:5], s[4:5], 3
	v_add3_u32 v3, v3, v10, v8
	s_add_u32 s4, s0, s4
	s_addc_u32 s5, s1, s5
	s_mul_i32 s0, s6, s13
	s_mul_hi_u32 s1, s6, s14
	v_mul_lo_u32 v8, s3, v9
	v_mul_lo_u32 v10, s2, v4
	v_mad_u64_u32 v[4:5], null, s2, v9, 0
	s_add_i32 s0, s1, s0
	s_mul_i32 s1, s7, s14
	v_add3_u32 v7, v7, v12, v11
	s_add_i32 s1, s0, s1
	s_mul_i32 s0, s6, s14
	v_lshlrev_b64 v[2:3], 3, v[2:3]
	s_lshl_b64 s[0:1], s[0:1], 3
	v_lshlrev_b64 v[6:7], 3, v[6:7]
	s_add_u32 s0, s4, s0
	v_add3_u32 v5, v5, v10, v8
	s_addc_u32 s1, s5, s1
	v_add_co_u32 v8, vcc_lo, s0, v2
	v_add_co_ci_u32_e32 v9, vcc_lo, s1, v3, vcc_lo
	s_delay_alu instid0(VALU_DEP_3) | instskip(NEXT) | instid1(VALU_DEP_3)
	v_lshlrev_b64 v[2:3], 3, v[4:5]
	v_add_co_u32 v4, vcc_lo, v8, v6
	s_delay_alu instid0(VALU_DEP_3) | instskip(NEXT) | instid1(VALU_DEP_2)
	v_add_co_ci_u32_e32 v5, vcc_lo, v9, v7, vcc_lo
	v_add_co_u32 v2, vcc_lo, v4, v2
	s_delay_alu instid0(VALU_DEP_2)
	v_add_co_ci_u32_e32 v3, vcc_lo, v5, v3, vcc_lo
	s_waitcnt vmcnt(0)
	global_store_b64 v[2:3], v[0:1], off
.LBB45_14:
	s_nop 0
	s_sendmsg sendmsg(MSG_DEALLOC_VGPRS)
	s_endpgm
	.section	.rodata,"a",@progbits
	.p2align	6, 0x0
	.amdhsa_kernel _ZN2at6native12_GLOBAL__N_132replication_pad_forward_kernel3dIdEEvN5torch10headeronly6detail27GenericPackedTensorAccessorINS5_14TensorAccessorIN3c108ArrayRefIlEEKT_Lm4ENS4_16DefaultPtrTraitsElEENS_6detail16IndexBoundsCheckILm5ElEESC_Lm5ESD_lEENS6_INS7_ISA_SB_Lm4ESD_lEESH_SB_Lm5ESD_lEEiiiii
		.amdhsa_group_segment_fixed_size 0
		.amdhsa_private_segment_fixed_size 0
		.amdhsa_kernarg_size 456
		.amdhsa_user_sgpr_count 13
		.amdhsa_user_sgpr_dispatch_ptr 0
		.amdhsa_user_sgpr_queue_ptr 0
		.amdhsa_user_sgpr_kernarg_segment_ptr 1
		.amdhsa_user_sgpr_dispatch_id 0
		.amdhsa_user_sgpr_private_segment_size 0
		.amdhsa_wavefront_size32 1
		.amdhsa_uses_dynamic_stack 0
		.amdhsa_enable_private_segment 0
		.amdhsa_system_sgpr_workgroup_id_x 1
		.amdhsa_system_sgpr_workgroup_id_y 1
		.amdhsa_system_sgpr_workgroup_id_z 1
		.amdhsa_system_sgpr_workgroup_info 0
		.amdhsa_system_vgpr_workitem_id 0
		.amdhsa_next_free_vgpr 17
		.amdhsa_next_free_sgpr 32
		.amdhsa_reserve_vcc 1
		.amdhsa_float_round_mode_32 0
		.amdhsa_float_round_mode_16_64 0
		.amdhsa_float_denorm_mode_32 3
		.amdhsa_float_denorm_mode_16_64 3
		.amdhsa_dx10_clamp 1
		.amdhsa_ieee_mode 1
		.amdhsa_fp16_overflow 0
		.amdhsa_workgroup_processor_mode 1
		.amdhsa_memory_ordered 1
		.amdhsa_forward_progress 0
		.amdhsa_shared_vgpr_count 0
		.amdhsa_exception_fp_ieee_invalid_op 0
		.amdhsa_exception_fp_denorm_src 0
		.amdhsa_exception_fp_ieee_div_zero 0
		.amdhsa_exception_fp_ieee_overflow 0
		.amdhsa_exception_fp_ieee_underflow 0
		.amdhsa_exception_fp_ieee_inexact 0
		.amdhsa_exception_int_div_zero 0
	.end_amdhsa_kernel
	.section	.text._ZN2at6native12_GLOBAL__N_132replication_pad_forward_kernel3dIdEEvN5torch10headeronly6detail27GenericPackedTensorAccessorINS5_14TensorAccessorIN3c108ArrayRefIlEEKT_Lm4ENS4_16DefaultPtrTraitsElEENS_6detail16IndexBoundsCheckILm5ElEESC_Lm5ESD_lEENS6_INS7_ISA_SB_Lm4ESD_lEESH_SB_Lm5ESD_lEEiiiii,"axG",@progbits,_ZN2at6native12_GLOBAL__N_132replication_pad_forward_kernel3dIdEEvN5torch10headeronly6detail27GenericPackedTensorAccessorINS5_14TensorAccessorIN3c108ArrayRefIlEEKT_Lm4ENS4_16DefaultPtrTraitsElEENS_6detail16IndexBoundsCheckILm5ElEESC_Lm5ESD_lEENS6_INS7_ISA_SB_Lm4ESD_lEESH_SB_Lm5ESD_lEEiiiii,comdat
.Lfunc_end45:
	.size	_ZN2at6native12_GLOBAL__N_132replication_pad_forward_kernel3dIdEEvN5torch10headeronly6detail27GenericPackedTensorAccessorINS5_14TensorAccessorIN3c108ArrayRefIlEEKT_Lm4ENS4_16DefaultPtrTraitsElEENS_6detail16IndexBoundsCheckILm5ElEESC_Lm5ESD_lEENS6_INS7_ISA_SB_Lm4ESD_lEESH_SB_Lm5ESD_lEEiiiii, .Lfunc_end45-_ZN2at6native12_GLOBAL__N_132replication_pad_forward_kernel3dIdEEvN5torch10headeronly6detail27GenericPackedTensorAccessorINS5_14TensorAccessorIN3c108ArrayRefIlEEKT_Lm4ENS4_16DefaultPtrTraitsElEENS_6detail16IndexBoundsCheckILm5ElEESC_Lm5ESD_lEENS6_INS7_ISA_SB_Lm4ESD_lEESH_SB_Lm5ESD_lEEiiiii
                                        ; -- End function
	.section	.AMDGPU.csdata,"",@progbits
; Kernel info:
; codeLenInByte = 3796
; NumSgprs: 34
; NumVgprs: 17
; ScratchSize: 0
; MemoryBound: 0
; FloatMode: 240
; IeeeMode: 1
; LDSByteSize: 0 bytes/workgroup (compile time only)
; SGPRBlocks: 4
; VGPRBlocks: 2
; NumSGPRsForWavesPerEU: 34
; NumVGPRsForWavesPerEU: 17
; Occupancy: 16
; WaveLimiterHint : 1
; COMPUTE_PGM_RSRC2:SCRATCH_EN: 0
; COMPUTE_PGM_RSRC2:USER_SGPR: 13
; COMPUTE_PGM_RSRC2:TRAP_HANDLER: 0
; COMPUTE_PGM_RSRC2:TGID_X_EN: 1
; COMPUTE_PGM_RSRC2:TGID_Y_EN: 1
; COMPUTE_PGM_RSRC2:TGID_Z_EN: 1
; COMPUTE_PGM_RSRC2:TIDIG_COMP_CNT: 0
	.section	.text._ZN2at6native12_GLOBAL__N_132replication_pad_forward_kernel3dIfEEvN5torch10headeronly6detail27GenericPackedTensorAccessorINS5_14TensorAccessorIN3c108ArrayRefIlEEKT_Lm4ENS4_16DefaultPtrTraitsElEENS_6detail16IndexBoundsCheckILm5ElEESC_Lm5ESD_lEENS6_INS7_ISA_SB_Lm4ESD_lEESH_SB_Lm5ESD_lEEiiiii,"axG",@progbits,_ZN2at6native12_GLOBAL__N_132replication_pad_forward_kernel3dIfEEvN5torch10headeronly6detail27GenericPackedTensorAccessorINS5_14TensorAccessorIN3c108ArrayRefIlEEKT_Lm4ENS4_16DefaultPtrTraitsElEENS_6detail16IndexBoundsCheckILm5ElEESC_Lm5ESD_lEENS6_INS7_ISA_SB_Lm4ESD_lEESH_SB_Lm5ESD_lEEiiiii,comdat
	.globl	_ZN2at6native12_GLOBAL__N_132replication_pad_forward_kernel3dIfEEvN5torch10headeronly6detail27GenericPackedTensorAccessorINS5_14TensorAccessorIN3c108ArrayRefIlEEKT_Lm4ENS4_16DefaultPtrTraitsElEENS_6detail16IndexBoundsCheckILm5ElEESC_Lm5ESD_lEENS6_INS7_ISA_SB_Lm4ESD_lEESH_SB_Lm5ESD_lEEiiiii ; -- Begin function _ZN2at6native12_GLOBAL__N_132replication_pad_forward_kernel3dIfEEvN5torch10headeronly6detail27GenericPackedTensorAccessorINS5_14TensorAccessorIN3c108ArrayRefIlEEKT_Lm4ENS4_16DefaultPtrTraitsElEENS_6detail16IndexBoundsCheckILm5ElEESC_Lm5ESD_lEENS6_INS7_ISA_SB_Lm4ESD_lEESH_SB_Lm5ESD_lEEiiiii
	.p2align	8
	.type	_ZN2at6native12_GLOBAL__N_132replication_pad_forward_kernel3dIfEEvN5torch10headeronly6detail27GenericPackedTensorAccessorINS5_14TensorAccessorIN3c108ArrayRefIlEEKT_Lm4ENS4_16DefaultPtrTraitsElEENS_6detail16IndexBoundsCheckILm5ElEESC_Lm5ESD_lEENS6_INS7_ISA_SB_Lm4ESD_lEESH_SB_Lm5ESD_lEEiiiii,@function
_ZN2at6native12_GLOBAL__N_132replication_pad_forward_kernel3dIfEEvN5torch10headeronly6detail27GenericPackedTensorAccessorINS5_14TensorAccessorIN3c108ArrayRefIlEEKT_Lm4ENS4_16DefaultPtrTraitsElEENS_6detail16IndexBoundsCheckILm5ElEESC_Lm5ESD_lEENS6_INS7_ISA_SB_Lm4ESD_lEESH_SB_Lm5ESD_lEEiiiii: ; @_ZN2at6native12_GLOBAL__N_132replication_pad_forward_kernel3dIfEEvN5torch10headeronly6detail27GenericPackedTensorAccessorINS5_14TensorAccessorIN3c108ArrayRefIlEEKT_Lm4ENS4_16DefaultPtrTraitsElEENS_6detail16IndexBoundsCheckILm5ElEESC_Lm5ESD_lEENS6_INS7_ISA_SB_Lm4ESD_lEESH_SB_Lm5ESD_lEEiiiii
; %bb.0:
	s_clause 0x2
	s_load_b32 s2, s[0:1], 0xd4
	s_load_b128 s[4:7], s[0:1], 0x70
	s_load_b64 s[8:9], s[0:1], 0x80
	s_waitcnt lgkmcnt(0)
	s_and_b32 s2, s2, 0xffff
	s_delay_alu instid0(SALU_CYCLE_1)
	v_mad_u64_u32 v[1:2], null, s13, s2, v[0:1]
	s_mul_i32 s10, s8, s7
	s_mul_hi_u32 s11, s8, s6
	s_mul_i32 s2, s9, s6
	s_mul_i32 s3, s8, s6
	s_add_i32 s12, s11, s10
	s_mul_i32 s5, s3, s5
	s_mul_hi_u32 s10, s3, s4
	s_add_i32 s12, s12, s2
	v_ashrrev_i32_e32 v2, 31, v1
	s_add_i32 s2, s10, s5
	s_mul_i32 s5, s12, s4
	s_mul_i32 s4, s3, s4
	s_add_i32 s5, s2, s5
	s_mov_b32 s2, exec_lo
	v_cmpx_gt_i64_e64 s[4:5], v[1:2]
	s_cbranch_execz .LBB46_14
; %bb.1:
	v_or_b32_e32 v4, s9, v2
	v_mov_b32_e32 v3, 0
	s_delay_alu instid0(VALU_DEP_1) | instskip(SKIP_1) | instid1(SALU_CYCLE_1)
	v_cmp_ne_u64_e32 vcc_lo, 0, v[3:4]
                                        ; implicit-def: $vgpr3_vgpr4
	s_and_saveexec_b32 s2, vcc_lo
	s_xor_b32 s13, exec_lo, s2
	s_cbranch_execz .LBB46_3
; %bb.2:
	s_ashr_i32 s4, s9, 31
	s_delay_alu instid0(SALU_CYCLE_1) | instskip(SKIP_2) | instid1(SALU_CYCLE_1)
	s_add_u32 s10, s8, s4
	s_mov_b32 s5, s4
	s_addc_u32 s11, s9, s4
	s_xor_b64 s[10:11], s[10:11], s[4:5]
	s_delay_alu instid0(SALU_CYCLE_1) | instskip(SKIP_3) | instid1(VALU_DEP_1)
	v_cvt_f32_u32_e32 v0, s10
	v_cvt_f32_u32_e32 v3, s11
	s_sub_u32 s2, 0, s10
	s_subb_u32 s5, 0, s11
	v_fmamk_f32 v0, v3, 0x4f800000, v0
	s_delay_alu instid0(VALU_DEP_1) | instskip(SKIP_2) | instid1(VALU_DEP_1)
	v_rcp_f32_e32 v0, v0
	s_waitcnt_depctr 0xfff
	v_mul_f32_e32 v0, 0x5f7ffffc, v0
	v_mul_f32_e32 v3, 0x2f800000, v0
	s_delay_alu instid0(VALU_DEP_1) | instskip(NEXT) | instid1(VALU_DEP_1)
	v_trunc_f32_e32 v3, v3
	v_fmamk_f32 v0, v3, 0xcf800000, v0
	v_cvt_u32_f32_e32 v3, v3
	s_delay_alu instid0(VALU_DEP_2) | instskip(NEXT) | instid1(VALU_DEP_2)
	v_cvt_u32_f32_e32 v0, v0
	v_mul_lo_u32 v4, s2, v3
	s_delay_alu instid0(VALU_DEP_2) | instskip(SKIP_1) | instid1(VALU_DEP_2)
	v_mul_hi_u32 v5, s2, v0
	v_mul_lo_u32 v6, s5, v0
	v_add_nc_u32_e32 v4, v5, v4
	v_mul_lo_u32 v5, s2, v0
	s_delay_alu instid0(VALU_DEP_2) | instskip(NEXT) | instid1(VALU_DEP_2)
	v_add_nc_u32_e32 v4, v4, v6
	v_mul_hi_u32 v6, v0, v5
	s_delay_alu instid0(VALU_DEP_2)
	v_mul_lo_u32 v7, v0, v4
	v_mul_hi_u32 v8, v0, v4
	v_mul_hi_u32 v9, v3, v5
	v_mul_lo_u32 v5, v3, v5
	v_mul_hi_u32 v10, v3, v4
	v_mul_lo_u32 v4, v3, v4
	v_add_co_u32 v6, vcc_lo, v6, v7
	v_add_co_ci_u32_e32 v7, vcc_lo, 0, v8, vcc_lo
	s_delay_alu instid0(VALU_DEP_2) | instskip(NEXT) | instid1(VALU_DEP_2)
	v_add_co_u32 v5, vcc_lo, v6, v5
	v_add_co_ci_u32_e32 v5, vcc_lo, v7, v9, vcc_lo
	v_add_co_ci_u32_e32 v6, vcc_lo, 0, v10, vcc_lo
	v_ashrrev_i32_e32 v9, 31, v2
	s_delay_alu instid0(VALU_DEP_3) | instskip(NEXT) | instid1(VALU_DEP_3)
	v_add_co_u32 v4, vcc_lo, v5, v4
	v_add_co_ci_u32_e32 v5, vcc_lo, 0, v6, vcc_lo
	s_delay_alu instid0(VALU_DEP_2) | instskip(NEXT) | instid1(VALU_DEP_2)
	v_add_co_u32 v0, vcc_lo, v0, v4
	v_add_co_ci_u32_e32 v3, vcc_lo, v3, v5, vcc_lo
	s_delay_alu instid0(VALU_DEP_2) | instskip(SKIP_1) | instid1(VALU_DEP_3)
	v_mul_hi_u32 v4, s2, v0
	v_mul_lo_u32 v6, s5, v0
	v_mul_lo_u32 v5, s2, v3
	s_delay_alu instid0(VALU_DEP_1) | instskip(SKIP_1) | instid1(VALU_DEP_2)
	v_add_nc_u32_e32 v4, v4, v5
	v_mul_lo_u32 v5, s2, v0
	v_add_nc_u32_e32 v4, v4, v6
	s_delay_alu instid0(VALU_DEP_2) | instskip(NEXT) | instid1(VALU_DEP_2)
	v_mul_hi_u32 v6, v0, v5
	v_mul_lo_u32 v7, v0, v4
	v_mul_hi_u32 v8, v0, v4
	v_mul_hi_u32 v10, v3, v5
	v_mul_lo_u32 v5, v3, v5
	v_mul_hi_u32 v11, v3, v4
	v_mul_lo_u32 v4, v3, v4
	v_add_co_u32 v6, vcc_lo, v6, v7
	v_add_co_ci_u32_e32 v7, vcc_lo, 0, v8, vcc_lo
	s_delay_alu instid0(VALU_DEP_2) | instskip(NEXT) | instid1(VALU_DEP_2)
	v_add_co_u32 v5, vcc_lo, v6, v5
	v_add_co_ci_u32_e32 v5, vcc_lo, v7, v10, vcc_lo
	v_add_co_ci_u32_e32 v6, vcc_lo, 0, v11, vcc_lo
	v_add_co_u32 v7, vcc_lo, v1, v9
	v_add_co_ci_u32_e32 v8, vcc_lo, v2, v9, vcc_lo
	s_delay_alu instid0(VALU_DEP_4) | instskip(NEXT) | instid1(VALU_DEP_4)
	v_add_co_u32 v4, vcc_lo, v5, v4
	v_add_co_ci_u32_e32 v5, vcc_lo, 0, v6, vcc_lo
	s_delay_alu instid0(VALU_DEP_4) | instskip(NEXT) | instid1(VALU_DEP_3)
	v_xor_b32_e32 v10, v7, v9
	v_add_co_u32 v0, vcc_lo, v0, v4
	s_delay_alu instid0(VALU_DEP_3) | instskip(SKIP_1) | instid1(VALU_DEP_3)
	v_add_co_ci_u32_e32 v11, vcc_lo, v3, v5, vcc_lo
	v_xor_b32_e32 v12, v8, v9
	v_mul_hi_u32 v13, v10, v0
	s_delay_alu instid0(VALU_DEP_3) | instskip(NEXT) | instid1(VALU_DEP_3)
	v_mad_u64_u32 v[3:4], null, v10, v11, 0
	v_mad_u64_u32 v[5:6], null, v12, v0, 0
	;; [unrolled: 1-line block ×3, first 2 shown]
	s_delay_alu instid0(VALU_DEP_3) | instskip(NEXT) | instid1(VALU_DEP_4)
	v_add_co_u32 v0, vcc_lo, v13, v3
	v_add_co_ci_u32_e32 v3, vcc_lo, 0, v4, vcc_lo
	s_delay_alu instid0(VALU_DEP_2) | instskip(NEXT) | instid1(VALU_DEP_2)
	v_add_co_u32 v0, vcc_lo, v0, v5
	v_add_co_ci_u32_e32 v0, vcc_lo, v3, v6, vcc_lo
	v_add_co_ci_u32_e32 v3, vcc_lo, 0, v8, vcc_lo
	s_delay_alu instid0(VALU_DEP_2) | instskip(NEXT) | instid1(VALU_DEP_2)
	v_add_co_u32 v0, vcc_lo, v0, v7
	v_add_co_ci_u32_e32 v5, vcc_lo, 0, v3, vcc_lo
	s_delay_alu instid0(VALU_DEP_2) | instskip(SKIP_1) | instid1(VALU_DEP_3)
	v_mul_lo_u32 v6, s11, v0
	v_mad_u64_u32 v[3:4], null, s10, v0, 0
	v_mul_lo_u32 v7, s10, v5
	s_delay_alu instid0(VALU_DEP_2) | instskip(NEXT) | instid1(VALU_DEP_2)
	v_sub_co_u32 v3, vcc_lo, v10, v3
	v_add3_u32 v4, v4, v7, v6
	s_delay_alu instid0(VALU_DEP_1) | instskip(NEXT) | instid1(VALU_DEP_1)
	v_sub_nc_u32_e32 v6, v12, v4
	v_subrev_co_ci_u32_e64 v6, s2, s11, v6, vcc_lo
	v_add_co_u32 v7, s2, v0, 2
	s_delay_alu instid0(VALU_DEP_1) | instskip(SKIP_3) | instid1(VALU_DEP_3)
	v_add_co_ci_u32_e64 v8, s2, 0, v5, s2
	v_sub_co_u32 v10, s2, v3, s10
	v_sub_co_ci_u32_e32 v4, vcc_lo, v12, v4, vcc_lo
	v_subrev_co_ci_u32_e64 v6, s2, 0, v6, s2
	v_cmp_le_u32_e32 vcc_lo, s10, v10
	s_delay_alu instid0(VALU_DEP_3) | instskip(SKIP_1) | instid1(VALU_DEP_4)
	v_cmp_eq_u32_e64 s2, s11, v4
	v_cndmask_b32_e64 v10, 0, -1, vcc_lo
	v_cmp_le_u32_e32 vcc_lo, s11, v6
	v_cndmask_b32_e64 v11, 0, -1, vcc_lo
	v_cmp_le_u32_e32 vcc_lo, s10, v3
	;; [unrolled: 2-line block ×3, first 2 shown]
	v_cndmask_b32_e64 v12, 0, -1, vcc_lo
	v_cmp_eq_u32_e32 vcc_lo, s11, v6
	s_delay_alu instid0(VALU_DEP_2) | instskip(SKIP_3) | instid1(VALU_DEP_3)
	v_cndmask_b32_e64 v3, v12, v3, s2
	v_cndmask_b32_e32 v6, v11, v10, vcc_lo
	v_add_co_u32 v10, vcc_lo, v0, 1
	v_add_co_ci_u32_e32 v11, vcc_lo, 0, v5, vcc_lo
	v_cmp_ne_u32_e32 vcc_lo, 0, v6
	s_delay_alu instid0(VALU_DEP_2) | instskip(NEXT) | instid1(VALU_DEP_4)
	v_cndmask_b32_e32 v4, v11, v8, vcc_lo
	v_cndmask_b32_e32 v6, v10, v7, vcc_lo
	v_cmp_ne_u32_e32 vcc_lo, 0, v3
	v_xor_b32_e32 v7, s4, v9
	s_delay_alu instid0(VALU_DEP_3) | instskip(NEXT) | instid1(VALU_DEP_1)
	v_dual_cndmask_b32 v0, v0, v6 :: v_dual_cndmask_b32 v3, v5, v4
	v_xor_b32_e32 v0, v0, v7
	s_delay_alu instid0(VALU_DEP_2) | instskip(NEXT) | instid1(VALU_DEP_2)
	v_xor_b32_e32 v4, v3, v7
	v_sub_co_u32 v3, vcc_lo, v0, v7
	s_delay_alu instid0(VALU_DEP_2)
	v_sub_co_ci_u32_e32 v4, vcc_lo, v4, v7, vcc_lo
.LBB46_3:
	s_and_not1_saveexec_b32 s2, s13
	s_cbranch_execz .LBB46_5
; %bb.4:
	v_cvt_f32_u32_e32 v0, s8
	s_sub_i32 s4, 0, s8
	s_delay_alu instid0(VALU_DEP_1) | instskip(SKIP_2) | instid1(VALU_DEP_1)
	v_rcp_iflag_f32_e32 v0, v0
	s_waitcnt_depctr 0xfff
	v_mul_f32_e32 v0, 0x4f7ffffe, v0
	v_cvt_u32_f32_e32 v0, v0
	s_delay_alu instid0(VALU_DEP_1) | instskip(NEXT) | instid1(VALU_DEP_1)
	v_mul_lo_u32 v3, s4, v0
	v_mul_hi_u32 v3, v0, v3
	s_delay_alu instid0(VALU_DEP_1) | instskip(NEXT) | instid1(VALU_DEP_1)
	v_add_nc_u32_e32 v0, v0, v3
	v_mul_hi_u32 v0, v1, v0
	s_delay_alu instid0(VALU_DEP_1) | instskip(SKIP_1) | instid1(VALU_DEP_2)
	v_mul_lo_u32 v3, v0, s8
	v_add_nc_u32_e32 v4, 1, v0
	v_sub_nc_u32_e32 v3, v1, v3
	s_delay_alu instid0(VALU_DEP_1) | instskip(SKIP_1) | instid1(VALU_DEP_2)
	v_subrev_nc_u32_e32 v5, s8, v3
	v_cmp_le_u32_e32 vcc_lo, s8, v3
	v_dual_cndmask_b32 v3, v3, v5 :: v_dual_cndmask_b32 v0, v0, v4
	s_delay_alu instid0(VALU_DEP_1) | instskip(NEXT) | instid1(VALU_DEP_2)
	v_cmp_le_u32_e32 vcc_lo, s8, v3
	v_add_nc_u32_e32 v4, 1, v0
	s_delay_alu instid0(VALU_DEP_1)
	v_dual_cndmask_b32 v3, v0, v4 :: v_dual_mov_b32 v4, 0
.LBB46_5:
	s_or_b32 exec_lo, exec_lo, s2
	s_delay_alu instid0(VALU_DEP_1) | instskip(SKIP_1) | instid1(VALU_DEP_1)
	v_or_b32_e32 v6, s7, v4
	v_mov_b32_e32 v5, 0
	v_cmp_ne_u64_e32 vcc_lo, 0, v[5:6]
                                        ; implicit-def: $vgpr5_vgpr6
	s_and_saveexec_b32 s2, vcc_lo
	s_delay_alu instid0(SALU_CYCLE_1)
	s_xor_b32 s10, exec_lo, s2
	s_cbranch_execz .LBB46_7
; %bb.6:
	s_ashr_i32 s4, s7, 31
	s_delay_alu instid0(SALU_CYCLE_1) | instskip(SKIP_2) | instid1(SALU_CYCLE_1)
	s_add_u32 s16, s6, s4
	s_mov_b32 s5, s4
	s_addc_u32 s17, s7, s4
	s_xor_b64 s[4:5], s[16:17], s[4:5]
	s_delay_alu instid0(SALU_CYCLE_1) | instskip(SKIP_3) | instid1(VALU_DEP_1)
	v_cvt_f32_u32_e32 v0, s4
	v_cvt_f32_u32_e32 v5, s5
	s_sub_u32 s2, 0, s4
	s_subb_u32 s7, 0, s5
	v_fmamk_f32 v0, v5, 0x4f800000, v0
	s_delay_alu instid0(VALU_DEP_1) | instskip(SKIP_2) | instid1(VALU_DEP_1)
	v_rcp_f32_e32 v0, v0
	s_waitcnt_depctr 0xfff
	v_mul_f32_e32 v0, 0x5f7ffffc, v0
	v_mul_f32_e32 v5, 0x2f800000, v0
	s_delay_alu instid0(VALU_DEP_1) | instskip(NEXT) | instid1(VALU_DEP_1)
	v_trunc_f32_e32 v5, v5
	v_fmamk_f32 v0, v5, 0xcf800000, v0
	v_cvt_u32_f32_e32 v5, v5
	s_delay_alu instid0(VALU_DEP_2) | instskip(NEXT) | instid1(VALU_DEP_2)
	v_cvt_u32_f32_e32 v0, v0
	v_mul_lo_u32 v6, s2, v5
	s_delay_alu instid0(VALU_DEP_2) | instskip(SKIP_1) | instid1(VALU_DEP_2)
	v_mul_hi_u32 v7, s2, v0
	v_mul_lo_u32 v8, s7, v0
	v_add_nc_u32_e32 v6, v7, v6
	v_mul_lo_u32 v7, s2, v0
	s_delay_alu instid0(VALU_DEP_2) | instskip(NEXT) | instid1(VALU_DEP_2)
	v_add_nc_u32_e32 v6, v6, v8
	v_mul_hi_u32 v8, v0, v7
	s_delay_alu instid0(VALU_DEP_2)
	v_mul_lo_u32 v9, v0, v6
	v_mul_hi_u32 v10, v0, v6
	v_mul_hi_u32 v11, v5, v7
	v_mul_lo_u32 v7, v5, v7
	v_mul_hi_u32 v12, v5, v6
	v_mul_lo_u32 v6, v5, v6
	v_add_co_u32 v8, vcc_lo, v8, v9
	v_add_co_ci_u32_e32 v9, vcc_lo, 0, v10, vcc_lo
	s_delay_alu instid0(VALU_DEP_2) | instskip(NEXT) | instid1(VALU_DEP_2)
	v_add_co_u32 v7, vcc_lo, v8, v7
	v_add_co_ci_u32_e32 v7, vcc_lo, v9, v11, vcc_lo
	v_add_co_ci_u32_e32 v8, vcc_lo, 0, v12, vcc_lo
	v_ashrrev_i32_e32 v11, 31, v4
	s_delay_alu instid0(VALU_DEP_3) | instskip(NEXT) | instid1(VALU_DEP_3)
	v_add_co_u32 v6, vcc_lo, v7, v6
	v_add_co_ci_u32_e32 v7, vcc_lo, 0, v8, vcc_lo
	s_delay_alu instid0(VALU_DEP_2) | instskip(NEXT) | instid1(VALU_DEP_2)
	v_add_co_u32 v0, vcc_lo, v0, v6
	v_add_co_ci_u32_e32 v5, vcc_lo, v5, v7, vcc_lo
	s_delay_alu instid0(VALU_DEP_2) | instskip(SKIP_1) | instid1(VALU_DEP_3)
	v_mul_hi_u32 v6, s2, v0
	v_mul_lo_u32 v8, s7, v0
	v_mul_lo_u32 v7, s2, v5
	s_delay_alu instid0(VALU_DEP_1) | instskip(SKIP_1) | instid1(VALU_DEP_2)
	v_add_nc_u32_e32 v6, v6, v7
	v_mul_lo_u32 v7, s2, v0
	v_add_nc_u32_e32 v6, v6, v8
	s_delay_alu instid0(VALU_DEP_2) | instskip(NEXT) | instid1(VALU_DEP_2)
	v_mul_hi_u32 v8, v0, v7
	v_mul_lo_u32 v9, v0, v6
	v_mul_hi_u32 v10, v0, v6
	v_mul_hi_u32 v12, v5, v7
	v_mul_lo_u32 v7, v5, v7
	v_mul_hi_u32 v13, v5, v6
	v_mul_lo_u32 v6, v5, v6
	v_add_co_u32 v8, vcc_lo, v8, v9
	v_add_co_ci_u32_e32 v9, vcc_lo, 0, v10, vcc_lo
	s_delay_alu instid0(VALU_DEP_2) | instskip(NEXT) | instid1(VALU_DEP_2)
	v_add_co_u32 v7, vcc_lo, v8, v7
	v_add_co_ci_u32_e32 v7, vcc_lo, v9, v12, vcc_lo
	v_add_co_ci_u32_e32 v8, vcc_lo, 0, v13, vcc_lo
	v_add_co_u32 v9, vcc_lo, v3, v11
	v_add_co_ci_u32_e32 v10, vcc_lo, v4, v11, vcc_lo
	s_delay_alu instid0(VALU_DEP_4) | instskip(NEXT) | instid1(VALU_DEP_4)
	v_add_co_u32 v6, vcc_lo, v7, v6
	v_add_co_ci_u32_e32 v7, vcc_lo, 0, v8, vcc_lo
	s_delay_alu instid0(VALU_DEP_4) | instskip(NEXT) | instid1(VALU_DEP_3)
	v_xor_b32_e32 v12, v9, v11
	v_add_co_u32 v0, vcc_lo, v0, v6
	s_delay_alu instid0(VALU_DEP_3) | instskip(SKIP_1) | instid1(VALU_DEP_3)
	v_add_co_ci_u32_e32 v13, vcc_lo, v5, v7, vcc_lo
	v_xor_b32_e32 v14, v10, v11
	v_mul_hi_u32 v15, v12, v0
	s_delay_alu instid0(VALU_DEP_3) | instskip(NEXT) | instid1(VALU_DEP_3)
	v_mad_u64_u32 v[5:6], null, v12, v13, 0
	v_mad_u64_u32 v[7:8], null, v14, v0, 0
	;; [unrolled: 1-line block ×3, first 2 shown]
	s_delay_alu instid0(VALU_DEP_3) | instskip(NEXT) | instid1(VALU_DEP_4)
	v_add_co_u32 v0, vcc_lo, v15, v5
	v_add_co_ci_u32_e32 v5, vcc_lo, 0, v6, vcc_lo
	s_delay_alu instid0(VALU_DEP_2) | instskip(NEXT) | instid1(VALU_DEP_2)
	v_add_co_u32 v0, vcc_lo, v0, v7
	v_add_co_ci_u32_e32 v0, vcc_lo, v5, v8, vcc_lo
	v_add_co_ci_u32_e32 v5, vcc_lo, 0, v10, vcc_lo
	s_delay_alu instid0(VALU_DEP_2) | instskip(NEXT) | instid1(VALU_DEP_2)
	v_add_co_u32 v0, vcc_lo, v0, v9
	v_add_co_ci_u32_e32 v7, vcc_lo, 0, v5, vcc_lo
	s_delay_alu instid0(VALU_DEP_2) | instskip(SKIP_1) | instid1(VALU_DEP_3)
	v_mul_lo_u32 v8, s5, v0
	v_mad_u64_u32 v[5:6], null, s4, v0, 0
	v_mul_lo_u32 v0, s4, v7
	s_delay_alu instid0(VALU_DEP_2) | instskip(NEXT) | instid1(VALU_DEP_2)
	v_sub_co_u32 v5, vcc_lo, v12, v5
	v_add3_u32 v0, v6, v0, v8
	s_delay_alu instid0(VALU_DEP_1) | instskip(NEXT) | instid1(VALU_DEP_1)
	v_sub_nc_u32_e32 v6, v14, v0
	v_subrev_co_ci_u32_e64 v6, s2, s5, v6, vcc_lo
	s_delay_alu instid0(VALU_DEP_4) | instskip(SKIP_1) | instid1(VALU_DEP_3)
	v_sub_co_u32 v7, s2, v5, s4
	v_sub_co_ci_u32_e32 v0, vcc_lo, v14, v0, vcc_lo
	v_subrev_co_ci_u32_e64 v6, s2, 0, v6, s2
	s_delay_alu instid0(VALU_DEP_3) | instskip(SKIP_1) | instid1(VALU_DEP_3)
	v_cmp_le_u32_e32 vcc_lo, s4, v7
	v_cndmask_b32_e64 v8, 0, -1, vcc_lo
	v_cmp_le_u32_e32 vcc_lo, s5, v6
	v_cndmask_b32_e64 v9, 0, -1, vcc_lo
	;; [unrolled: 2-line block ×4, first 2 shown]
	v_cmp_eq_u32_e32 vcc_lo, s5, v6
	v_cndmask_b32_e32 v6, v9, v8, vcc_lo
	v_sub_co_u32 v8, vcc_lo, v7, s4
	v_cmp_eq_u32_e32 vcc_lo, s5, v0
	v_cndmask_b32_e32 v0, v12, v10, vcc_lo
	s_delay_alu instid0(VALU_DEP_4) | instskip(NEXT) | instid1(VALU_DEP_4)
	v_cmp_ne_u32_e32 vcc_lo, 0, v6
	v_cndmask_b32_e32 v6, v7, v8, vcc_lo
	s_delay_alu instid0(VALU_DEP_3) | instskip(NEXT) | instid1(VALU_DEP_2)
	v_cmp_ne_u32_e32 vcc_lo, 0, v0
	v_cndmask_b32_e32 v0, v5, v6, vcc_lo
	s_delay_alu instid0(VALU_DEP_1) | instskip(NEXT) | instid1(VALU_DEP_1)
	v_xor_b32_e32 v0, v0, v11
	v_sub_co_u32 v5, vcc_lo, v0, v11
.LBB46_7:
	s_and_not1_saveexec_b32 s2, s10
	s_cbranch_execz .LBB46_9
; %bb.8:
	v_cvt_f32_u32_e32 v0, s6
	s_sub_i32 s4, 0, s6
	s_delay_alu instid0(VALU_DEP_1) | instskip(SKIP_2) | instid1(VALU_DEP_1)
	v_rcp_iflag_f32_e32 v0, v0
	s_waitcnt_depctr 0xfff
	v_mul_f32_e32 v0, 0x4f7ffffe, v0
	v_cvt_u32_f32_e32 v0, v0
	s_delay_alu instid0(VALU_DEP_1) | instskip(NEXT) | instid1(VALU_DEP_1)
	v_mul_lo_u32 v5, s4, v0
	v_mul_hi_u32 v5, v0, v5
	s_delay_alu instid0(VALU_DEP_1) | instskip(NEXT) | instid1(VALU_DEP_1)
	v_add_nc_u32_e32 v0, v0, v5
	v_mul_hi_u32 v0, v3, v0
	s_delay_alu instid0(VALU_DEP_1) | instskip(NEXT) | instid1(VALU_DEP_1)
	v_mul_lo_u32 v0, v0, s6
	v_sub_nc_u32_e32 v0, v3, v0
	s_delay_alu instid0(VALU_DEP_1) | instskip(SKIP_1) | instid1(VALU_DEP_2)
	v_subrev_nc_u32_e32 v5, s6, v0
	v_cmp_le_u32_e32 vcc_lo, s6, v0
	v_cndmask_b32_e32 v0, v0, v5, vcc_lo
	s_delay_alu instid0(VALU_DEP_1) | instskip(SKIP_1) | instid1(VALU_DEP_2)
	v_subrev_nc_u32_e32 v5, s6, v0
	v_cmp_le_u32_e32 vcc_lo, s6, v0
	v_cndmask_b32_e32 v5, v0, v5, vcc_lo
.LBB46_9:
	s_or_b32 exec_lo, exec_lo, s2
	v_or_b32_e32 v7, s12, v2
	v_mov_b32_e32 v6, 0
	s_delay_alu instid0(VALU_DEP_1) | instskip(SKIP_1) | instid1(SALU_CYCLE_1)
	v_cmp_ne_u64_e32 vcc_lo, 0, v[6:7]
                                        ; implicit-def: $vgpr6_vgpr7
	s_and_saveexec_b32 s2, vcc_lo
	s_xor_b32 s10, exec_lo, s2
	s_cbranch_execz .LBB46_11
; %bb.10:
	s_ashr_i32 s4, s12, 31
	s_delay_alu instid0(SALU_CYCLE_1) | instskip(SKIP_2) | instid1(SALU_CYCLE_1)
	s_add_u32 s6, s3, s4
	s_mov_b32 s5, s4
	s_addc_u32 s7, s12, s4
	s_xor_b64 s[6:7], s[6:7], s[4:5]
	s_delay_alu instid0(SALU_CYCLE_1) | instskip(SKIP_3) | instid1(VALU_DEP_1)
	v_cvt_f32_u32_e32 v0, s6
	v_cvt_f32_u32_e32 v6, s7
	s_sub_u32 s2, 0, s6
	s_subb_u32 s5, 0, s7
	v_fmamk_f32 v0, v6, 0x4f800000, v0
	s_delay_alu instid0(VALU_DEP_1) | instskip(SKIP_2) | instid1(VALU_DEP_1)
	v_rcp_f32_e32 v0, v0
	s_waitcnt_depctr 0xfff
	v_mul_f32_e32 v0, 0x5f7ffffc, v0
	v_mul_f32_e32 v6, 0x2f800000, v0
	s_delay_alu instid0(VALU_DEP_1) | instskip(NEXT) | instid1(VALU_DEP_1)
	v_trunc_f32_e32 v6, v6
	v_fmamk_f32 v0, v6, 0xcf800000, v0
	v_cvt_u32_f32_e32 v6, v6
	s_delay_alu instid0(VALU_DEP_2) | instskip(NEXT) | instid1(VALU_DEP_2)
	v_cvt_u32_f32_e32 v0, v0
	v_mul_lo_u32 v7, s2, v6
	s_delay_alu instid0(VALU_DEP_2) | instskip(SKIP_1) | instid1(VALU_DEP_2)
	v_mul_hi_u32 v8, s2, v0
	v_mul_lo_u32 v9, s5, v0
	v_add_nc_u32_e32 v7, v8, v7
	v_mul_lo_u32 v8, s2, v0
	s_delay_alu instid0(VALU_DEP_2) | instskip(NEXT) | instid1(VALU_DEP_2)
	v_add_nc_u32_e32 v7, v7, v9
	v_mul_hi_u32 v9, v0, v8
	s_delay_alu instid0(VALU_DEP_2)
	v_mul_lo_u32 v10, v0, v7
	v_mul_hi_u32 v11, v0, v7
	v_mul_hi_u32 v12, v6, v8
	v_mul_lo_u32 v8, v6, v8
	v_mul_hi_u32 v13, v6, v7
	v_mul_lo_u32 v7, v6, v7
	v_add_co_u32 v9, vcc_lo, v9, v10
	v_add_co_ci_u32_e32 v10, vcc_lo, 0, v11, vcc_lo
	s_delay_alu instid0(VALU_DEP_2) | instskip(NEXT) | instid1(VALU_DEP_2)
	v_add_co_u32 v8, vcc_lo, v9, v8
	v_add_co_ci_u32_e32 v8, vcc_lo, v10, v12, vcc_lo
	v_add_co_ci_u32_e32 v9, vcc_lo, 0, v13, vcc_lo
	v_mov_b32_e32 v12, v2
	s_delay_alu instid0(VALU_DEP_3) | instskip(NEXT) | instid1(VALU_DEP_3)
	v_add_co_u32 v7, vcc_lo, v8, v7
	v_add_co_ci_u32_e32 v8, vcc_lo, 0, v9, vcc_lo
	v_mov_b32_e32 v13, v2
	s_delay_alu instid0(VALU_DEP_3) | instskip(NEXT) | instid1(VALU_DEP_3)
	v_add_co_u32 v0, vcc_lo, v0, v7
	v_add_co_ci_u32_e32 v6, vcc_lo, v6, v8, vcc_lo
	s_delay_alu instid0(VALU_DEP_2) | instskip(SKIP_1) | instid1(VALU_DEP_3)
	v_mul_hi_u32 v7, s2, v0
	v_mul_lo_u32 v9, s5, v0
	v_mul_lo_u32 v8, s2, v6
	s_delay_alu instid0(VALU_DEP_1) | instskip(SKIP_1) | instid1(VALU_DEP_2)
	v_add_nc_u32_e32 v7, v7, v8
	v_mul_lo_u32 v8, s2, v0
	v_add_nc_u32_e32 v7, v7, v9
	s_delay_alu instid0(VALU_DEP_2) | instskip(NEXT) | instid1(VALU_DEP_2)
	v_mul_hi_u32 v9, v0, v8
	v_mul_lo_u32 v10, v0, v7
	v_mul_hi_u32 v11, v0, v7
	v_mul_hi_u32 v14, v6, v8
	v_mul_lo_u32 v8, v6, v8
	v_mul_hi_u32 v15, v6, v7
	v_mul_lo_u32 v7, v6, v7
	v_add_co_u32 v9, vcc_lo, v9, v10
	v_add_co_ci_u32_e32 v10, vcc_lo, 0, v11, vcc_lo
	s_delay_alu instid0(VALU_DEP_2) | instskip(NEXT) | instid1(VALU_DEP_2)
	v_add_co_u32 v8, vcc_lo, v9, v8
	v_add_co_ci_u32_e32 v8, vcc_lo, v10, v14, vcc_lo
	v_add_co_ci_u32_e32 v9, vcc_lo, 0, v15, vcc_lo
	v_add_co_u32 v10, vcc_lo, v1, v12
	v_add_co_ci_u32_e32 v11, vcc_lo, v2, v13, vcc_lo
	s_delay_alu instid0(VALU_DEP_4) | instskip(NEXT) | instid1(VALU_DEP_4)
	v_add_co_u32 v7, vcc_lo, v8, v7
	v_add_co_ci_u32_e32 v8, vcc_lo, 0, v9, vcc_lo
	s_delay_alu instid0(VALU_DEP_4) | instskip(NEXT) | instid1(VALU_DEP_3)
	v_xor_b32_e32 v14, v10, v12
	v_add_co_u32 v0, vcc_lo, v0, v7
	s_delay_alu instid0(VALU_DEP_3) | instskip(SKIP_1) | instid1(VALU_DEP_3)
	v_add_co_ci_u32_e32 v15, vcc_lo, v6, v8, vcc_lo
	v_xor_b32_e32 v13, v11, v13
	v_mul_hi_u32 v16, v14, v0
	s_delay_alu instid0(VALU_DEP_3) | instskip(NEXT) | instid1(VALU_DEP_3)
	v_mad_u64_u32 v[6:7], null, v14, v15, 0
	v_mad_u64_u32 v[8:9], null, v13, v0, 0
	;; [unrolled: 1-line block ×3, first 2 shown]
	s_delay_alu instid0(VALU_DEP_3) | instskip(NEXT) | instid1(VALU_DEP_4)
	v_add_co_u32 v0, vcc_lo, v16, v6
	v_add_co_ci_u32_e32 v6, vcc_lo, 0, v7, vcc_lo
	s_delay_alu instid0(VALU_DEP_2) | instskip(NEXT) | instid1(VALU_DEP_2)
	v_add_co_u32 v0, vcc_lo, v0, v8
	v_add_co_ci_u32_e32 v0, vcc_lo, v6, v9, vcc_lo
	v_add_co_ci_u32_e32 v6, vcc_lo, 0, v11, vcc_lo
	s_delay_alu instid0(VALU_DEP_2) | instskip(NEXT) | instid1(VALU_DEP_2)
	v_add_co_u32 v0, vcc_lo, v0, v10
	v_add_co_ci_u32_e32 v8, vcc_lo, 0, v6, vcc_lo
	s_delay_alu instid0(VALU_DEP_2) | instskip(SKIP_1) | instid1(VALU_DEP_3)
	v_mul_lo_u32 v9, s7, v0
	v_mad_u64_u32 v[6:7], null, s6, v0, 0
	v_mul_lo_u32 v8, s6, v8
	s_delay_alu instid0(VALU_DEP_2) | instskip(NEXT) | instid1(VALU_DEP_2)
	v_sub_co_u32 v6, vcc_lo, v14, v6
	v_add3_u32 v7, v7, v8, v9
	v_add_co_u32 v9, s2, v0, 2
	s_delay_alu instid0(VALU_DEP_2) | instskip(NEXT) | instid1(VALU_DEP_1)
	v_sub_nc_u32_e32 v8, v13, v7
	v_subrev_co_ci_u32_e64 v8, s2, s7, v8, vcc_lo
	v_sub_co_u32 v10, s2, v6, s6
	v_sub_co_ci_u32_e32 v7, vcc_lo, v13, v7, vcc_lo
	s_delay_alu instid0(VALU_DEP_3) | instskip(NEXT) | instid1(VALU_DEP_3)
	v_subrev_co_ci_u32_e64 v8, s2, 0, v8, s2
	v_cmp_le_u32_e32 vcc_lo, s6, v10
	v_cndmask_b32_e64 v10, 0, -1, vcc_lo
	s_delay_alu instid0(VALU_DEP_3)
	v_cmp_le_u32_e32 vcc_lo, s7, v8
	v_cndmask_b32_e64 v11, 0, -1, vcc_lo
	v_cmp_le_u32_e32 vcc_lo, s6, v6
	v_cndmask_b32_e64 v6, 0, -1, vcc_lo
	;; [unrolled: 2-line block ×3, first 2 shown]
	v_cmp_eq_u32_e32 vcc_lo, s7, v8
	v_cndmask_b32_e32 v8, v11, v10, vcc_lo
	v_add_co_u32 v10, vcc_lo, v0, 1
	v_cmp_eq_u32_e32 vcc_lo, s7, v7
	v_cndmask_b32_e32 v6, v13, v6, vcc_lo
	s_delay_alu instid0(VALU_DEP_4) | instskip(NEXT) | instid1(VALU_DEP_4)
	v_cmp_ne_u32_e32 vcc_lo, 0, v8
	v_cndmask_b32_e32 v7, v10, v9, vcc_lo
	s_delay_alu instid0(VALU_DEP_3) | instskip(SKIP_1) | instid1(VALU_DEP_3)
	v_cmp_ne_u32_e32 vcc_lo, 0, v6
	v_xor_b32_e32 v6, s4, v12
	v_cndmask_b32_e32 v0, v0, v7, vcc_lo
	s_delay_alu instid0(VALU_DEP_1) | instskip(NEXT) | instid1(VALU_DEP_1)
	v_xor_b32_e32 v0, v0, v6
	v_sub_co_u32 v6, vcc_lo, v0, v6
.LBB46_11:
	s_and_not1_saveexec_b32 s2, s10
	s_cbranch_execz .LBB46_13
; %bb.12:
	v_cvt_f32_u32_e32 v0, s3
	s_sub_i32 s4, 0, s3
	s_delay_alu instid0(VALU_DEP_1) | instskip(SKIP_2) | instid1(VALU_DEP_1)
	v_rcp_iflag_f32_e32 v0, v0
	s_waitcnt_depctr 0xfff
	v_mul_f32_e32 v0, 0x4f7ffffe, v0
	v_cvt_u32_f32_e32 v0, v0
	s_delay_alu instid0(VALU_DEP_1) | instskip(NEXT) | instid1(VALU_DEP_1)
	v_mul_lo_u32 v6, s4, v0
	v_mul_hi_u32 v6, v0, v6
	s_delay_alu instid0(VALU_DEP_1) | instskip(NEXT) | instid1(VALU_DEP_1)
	v_add_nc_u32_e32 v0, v0, v6
	v_mul_hi_u32 v0, v1, v0
	s_delay_alu instid0(VALU_DEP_1) | instskip(SKIP_1) | instid1(VALU_DEP_2)
	v_mul_lo_u32 v6, v0, s3
	v_add_nc_u32_e32 v7, 1, v0
	v_sub_nc_u32_e32 v6, v1, v6
	s_delay_alu instid0(VALU_DEP_1) | instskip(SKIP_1) | instid1(VALU_DEP_2)
	v_subrev_nc_u32_e32 v8, s3, v6
	v_cmp_le_u32_e32 vcc_lo, s3, v6
	v_cndmask_b32_e32 v6, v6, v8, vcc_lo
	v_cndmask_b32_e32 v0, v0, v7, vcc_lo
	s_delay_alu instid0(VALU_DEP_2) | instskip(NEXT) | instid1(VALU_DEP_2)
	v_cmp_le_u32_e32 vcc_lo, s3, v6
	v_add_nc_u32_e32 v7, 1, v0
	s_delay_alu instid0(VALU_DEP_1)
	v_cndmask_b32_e32 v6, v0, v7, vcc_lo
.LBB46_13:
	s_or_b32 exec_lo, exec_lo, s2
	s_clause 0x2
	s_load_b32 s10, s[0:1], 0xc0
	s_load_b128 s[4:7], s[0:1], 0xb0
	s_load_b512 s[16:31], s[0:1], 0x18
	v_mul_lo_u32 v0, v4, s8
	v_mul_lo_u32 v4, v3, s9
	v_mad_u64_u32 v[7:8], null, v3, s8, 0
	s_load_b64 s[2:3], s[0:1], 0xa8
	s_delay_alu instid0(VALU_DEP_1) | instskip(NEXT) | instid1(VALU_DEP_2)
	v_add3_u32 v0, v8, v4, v0
	v_sub_co_u32 v9, vcc_lo, v1, v7
	s_delay_alu instid0(VALU_DEP_2)
	v_sub_co_ci_u32_e32 v4, vcc_lo, v2, v0, vcc_lo
	s_waitcnt lgkmcnt(0)
	s_add_i32 s15, s15, s10
	s_add_i32 s14, s14, s7
	;; [unrolled: 1-line block ×3, first 2 shown]
	s_sub_i32 s7, 0, s6
	s_add_i32 s18, s18, -1
	s_sub_i32 s8, 0, s5
	s_add_i32 s19, s6, s20
	s_max_i32 s11, s5, 0
	v_maxmin_i32 v1, s5, v5, s18
	s_add_i32 s5, s4, s16
	s_max_i32 s10, s6, 0
	s_max_i32 s7, s7, 0
	;; [unrolled: 1-line block ×3, first 2 shown]
	s_add_i32 s19, s19, -1
	s_add_i32 s5, s5, -1
	s_sub_i32 s9, 0, s4
	v_maxmin_i32 v0, s6, v9, s19
	s_sub_i32 s6, s7, s10
	s_sub_i32 s7, s12, s11
	s_ashr_i32 s12, s15, 31
	v_maxmin_i32 v2, s4, v6, s5
	s_max_i32 s13, s9, 0
	s_max_i32 s17, s4, 0
	s_load_b64 s[8:9], s[0:1], 0x0
	s_mul_i32 s10, s22, s12
	s_mul_hi_u32 s11, s22, s15
	v_add_nc_u32_e32 v7, s7, v1
	s_add_i32 s4, s11, s10
	s_sub_i32 s10, s13, s17
	s_mul_i32 s5, s23, s15
	v_add_nc_u32_e32 v2, s10, v2
	v_add_nc_u32_e32 v10, s6, v0
	v_ashrrev_i32_e32 v3, 31, v7
	s_add_i32 s5, s4, s5
	s_mul_i32 s4, s22, s15
	v_ashrrev_i32_e32 v1, 31, v2
	v_mul_lo_u32 v11, s27, v2
	s_lshl_b64 s[4:5], s[4:5], 2
	v_mul_lo_u32 v12, s28, v3
	v_mul_lo_u32 v13, s29, v7
	;; [unrolled: 1-line block ×3, first 2 shown]
	v_mad_u64_u32 v[0:1], null, s26, v2, 0
	v_ashrrev_i32_e32 v14, 31, v10
	v_mad_u64_u32 v[2:3], null, s28, v7, 0
	s_waitcnt lgkmcnt(0)
	s_add_u32 s7, s8, s4
	s_addc_u32 s8, s9, s5
	s_ashr_i32 s13, s14, 31
	s_delay_alu instid0(VALU_DEP_3)
	v_add3_u32 v1, v1, v8, v11
	s_mul_i32 s4, s24, s13
	s_mul_hi_u32 s5, s24, s14
	v_mul_lo_u32 v11, s30, v14
	v_mul_lo_u32 v14, s31, v10
	v_mad_u64_u32 v[7:8], null, s30, v10, 0
	s_add_i32 s4, s5, s4
	s_mul_i32 s5, s25, s14
	v_add3_u32 v3, v3, v12, v13
	s_add_i32 s5, s4, s5
	s_mul_i32 s4, s24, s14
	v_lshlrev_b64 v[0:1], 2, v[0:1]
	s_lshl_b64 s[4:5], s[4:5], 2
	v_lshlrev_b64 v[2:3], 2, v[2:3]
	s_add_u32 s4, s7, s4
	v_add3_u32 v8, v8, v11, v14
	s_addc_u32 s5, s8, s5
	v_add_co_u32 v10, vcc_lo, s4, v0
	v_add_co_ci_u32_e32 v11, vcc_lo, s5, v1, vcc_lo
	s_delay_alu instid0(VALU_DEP_3) | instskip(NEXT) | instid1(VALU_DEP_3)
	v_lshlrev_b64 v[0:1], 2, v[7:8]
	v_add_co_u32 v2, vcc_lo, v10, v2
	s_delay_alu instid0(VALU_DEP_3) | instskip(NEXT) | instid1(VALU_DEP_2)
	v_add_co_ci_u32_e32 v3, vcc_lo, v11, v3, vcc_lo
	v_add_co_u32 v0, vcc_lo, v2, v0
	s_delay_alu instid0(VALU_DEP_2)
	v_add_co_ci_u32_e32 v1, vcc_lo, v3, v1, vcc_lo
	v_ashrrev_i32_e32 v2, 31, v5
	global_load_b32 v7, v[0:1], off
	s_clause 0x1
	s_load_b256 s[4:11], s[0:1], 0x88
	s_load_b64 s[0:1], s[0:1], 0x58
	v_ashrrev_i32_e32 v0, 31, v6
	s_waitcnt lgkmcnt(0)
	s_mul_i32 s12, s4, s12
	s_mul_hi_u32 s16, s4, s15
	v_mul_lo_u32 v8, s9, v6
	v_mul_lo_u32 v10, s8, v0
	v_mad_u64_u32 v[0:1], null, s8, v6, 0
	s_add_i32 s12, s16, s12
	s_mul_i32 s5, s5, s15
	s_mul_i32 s4, s4, s15
	s_add_i32 s5, s12, s5
	v_mul_lo_u32 v6, s11, v5
	v_mul_lo_u32 v11, s10, v2
	v_mad_u64_u32 v[2:3], null, s10, v5, 0
	s_lshl_b64 s[4:5], s[4:5], 2
	v_add3_u32 v1, v1, v10, v8
	s_add_u32 s4, s0, s4
	s_addc_u32 s5, s1, s5
	s_mul_i32 s0, s6, s13
	s_mul_hi_u32 s1, s6, s14
	v_mul_lo_u32 v8, s3, v9
	v_mul_lo_u32 v10, s2, v4
	v_mad_u64_u32 v[4:5], null, s2, v9, 0
	s_add_i32 s0, s1, s0
	s_mul_i32 s1, s7, s14
	v_add3_u32 v3, v3, v11, v6
	s_add_i32 s1, s0, s1
	s_mul_i32 s0, s6, s14
	v_lshlrev_b64 v[0:1], 2, v[0:1]
	s_lshl_b64 s[0:1], s[0:1], 2
	v_lshlrev_b64 v[2:3], 2, v[2:3]
	s_add_u32 s0, s4, s0
	v_add3_u32 v5, v5, v10, v8
	s_addc_u32 s1, s5, s1
	v_add_co_u32 v6, vcc_lo, s0, v0
	v_add_co_ci_u32_e32 v8, vcc_lo, s1, v1, vcc_lo
	s_delay_alu instid0(VALU_DEP_3) | instskip(NEXT) | instid1(VALU_DEP_3)
	v_lshlrev_b64 v[0:1], 2, v[4:5]
	v_add_co_u32 v2, vcc_lo, v6, v2
	s_delay_alu instid0(VALU_DEP_3) | instskip(NEXT) | instid1(VALU_DEP_2)
	v_add_co_ci_u32_e32 v3, vcc_lo, v8, v3, vcc_lo
	v_add_co_u32 v0, vcc_lo, v2, v0
	s_delay_alu instid0(VALU_DEP_2)
	v_add_co_ci_u32_e32 v1, vcc_lo, v3, v1, vcc_lo
	s_waitcnt vmcnt(0)
	global_store_b32 v[0:1], v7, off
.LBB46_14:
	s_nop 0
	s_sendmsg sendmsg(MSG_DEALLOC_VGPRS)
	s_endpgm
	.section	.rodata,"a",@progbits
	.p2align	6, 0x0
	.amdhsa_kernel _ZN2at6native12_GLOBAL__N_132replication_pad_forward_kernel3dIfEEvN5torch10headeronly6detail27GenericPackedTensorAccessorINS5_14TensorAccessorIN3c108ArrayRefIlEEKT_Lm4ENS4_16DefaultPtrTraitsElEENS_6detail16IndexBoundsCheckILm5ElEESC_Lm5ESD_lEENS6_INS7_ISA_SB_Lm4ESD_lEESH_SB_Lm5ESD_lEEiiiii
		.amdhsa_group_segment_fixed_size 0
		.amdhsa_private_segment_fixed_size 0
		.amdhsa_kernarg_size 456
		.amdhsa_user_sgpr_count 13
		.amdhsa_user_sgpr_dispatch_ptr 0
		.amdhsa_user_sgpr_queue_ptr 0
		.amdhsa_user_sgpr_kernarg_segment_ptr 1
		.amdhsa_user_sgpr_dispatch_id 0
		.amdhsa_user_sgpr_private_segment_size 0
		.amdhsa_wavefront_size32 1
		.amdhsa_uses_dynamic_stack 0
		.amdhsa_enable_private_segment 0
		.amdhsa_system_sgpr_workgroup_id_x 1
		.amdhsa_system_sgpr_workgroup_id_y 1
		.amdhsa_system_sgpr_workgroup_id_z 1
		.amdhsa_system_sgpr_workgroup_info 0
		.amdhsa_system_vgpr_workitem_id 0
		.amdhsa_next_free_vgpr 17
		.amdhsa_next_free_sgpr 32
		.amdhsa_reserve_vcc 1
		.amdhsa_float_round_mode_32 0
		.amdhsa_float_round_mode_16_64 0
		.amdhsa_float_denorm_mode_32 3
		.amdhsa_float_denorm_mode_16_64 3
		.amdhsa_dx10_clamp 1
		.amdhsa_ieee_mode 1
		.amdhsa_fp16_overflow 0
		.amdhsa_workgroup_processor_mode 1
		.amdhsa_memory_ordered 1
		.amdhsa_forward_progress 0
		.amdhsa_shared_vgpr_count 0
		.amdhsa_exception_fp_ieee_invalid_op 0
		.amdhsa_exception_fp_denorm_src 0
		.amdhsa_exception_fp_ieee_div_zero 0
		.amdhsa_exception_fp_ieee_overflow 0
		.amdhsa_exception_fp_ieee_underflow 0
		.amdhsa_exception_fp_ieee_inexact 0
		.amdhsa_exception_int_div_zero 0
	.end_amdhsa_kernel
	.section	.text._ZN2at6native12_GLOBAL__N_132replication_pad_forward_kernel3dIfEEvN5torch10headeronly6detail27GenericPackedTensorAccessorINS5_14TensorAccessorIN3c108ArrayRefIlEEKT_Lm4ENS4_16DefaultPtrTraitsElEENS_6detail16IndexBoundsCheckILm5ElEESC_Lm5ESD_lEENS6_INS7_ISA_SB_Lm4ESD_lEESH_SB_Lm5ESD_lEEiiiii,"axG",@progbits,_ZN2at6native12_GLOBAL__N_132replication_pad_forward_kernel3dIfEEvN5torch10headeronly6detail27GenericPackedTensorAccessorINS5_14TensorAccessorIN3c108ArrayRefIlEEKT_Lm4ENS4_16DefaultPtrTraitsElEENS_6detail16IndexBoundsCheckILm5ElEESC_Lm5ESD_lEENS6_INS7_ISA_SB_Lm4ESD_lEESH_SB_Lm5ESD_lEEiiiii,comdat
.Lfunc_end46:
	.size	_ZN2at6native12_GLOBAL__N_132replication_pad_forward_kernel3dIfEEvN5torch10headeronly6detail27GenericPackedTensorAccessorINS5_14TensorAccessorIN3c108ArrayRefIlEEKT_Lm4ENS4_16DefaultPtrTraitsElEENS_6detail16IndexBoundsCheckILm5ElEESC_Lm5ESD_lEENS6_INS7_ISA_SB_Lm4ESD_lEESH_SB_Lm5ESD_lEEiiiii, .Lfunc_end46-_ZN2at6native12_GLOBAL__N_132replication_pad_forward_kernel3dIfEEvN5torch10headeronly6detail27GenericPackedTensorAccessorINS5_14TensorAccessorIN3c108ArrayRefIlEEKT_Lm4ENS4_16DefaultPtrTraitsElEENS_6detail16IndexBoundsCheckILm5ElEESC_Lm5ESD_lEENS6_INS7_ISA_SB_Lm4ESD_lEESH_SB_Lm5ESD_lEEiiiii
                                        ; -- End function
	.section	.AMDGPU.csdata,"",@progbits
; Kernel info:
; codeLenInByte = 3796
; NumSgprs: 34
; NumVgprs: 17
; ScratchSize: 0
; MemoryBound: 0
; FloatMode: 240
; IeeeMode: 1
; LDSByteSize: 0 bytes/workgroup (compile time only)
; SGPRBlocks: 4
; VGPRBlocks: 2
; NumSGPRsForWavesPerEU: 34
; NumVGPRsForWavesPerEU: 17
; Occupancy: 16
; WaveLimiterHint : 1
; COMPUTE_PGM_RSRC2:SCRATCH_EN: 0
; COMPUTE_PGM_RSRC2:USER_SGPR: 13
; COMPUTE_PGM_RSRC2:TRAP_HANDLER: 0
; COMPUTE_PGM_RSRC2:TGID_X_EN: 1
; COMPUTE_PGM_RSRC2:TGID_Y_EN: 1
; COMPUTE_PGM_RSRC2:TGID_Z_EN: 1
; COMPUTE_PGM_RSRC2:TIDIG_COMP_CNT: 0
	.section	.text._ZN2at6native12_GLOBAL__N_132replication_pad_forward_kernel3dIN3c107complexIdEEEEvN5torch10headeronly6detail27GenericPackedTensorAccessorINS8_14TensorAccessorINS3_8ArrayRefIlEEKT_Lm4ENS7_16DefaultPtrTraitsElEENS_6detail16IndexBoundsCheckILm5ElEESE_Lm5ESF_lEENS9_INSA_ISC_SD_Lm4ESF_lEESJ_SD_Lm5ESF_lEEiiiii,"axG",@progbits,_ZN2at6native12_GLOBAL__N_132replication_pad_forward_kernel3dIN3c107complexIdEEEEvN5torch10headeronly6detail27GenericPackedTensorAccessorINS8_14TensorAccessorINS3_8ArrayRefIlEEKT_Lm4ENS7_16DefaultPtrTraitsElEENS_6detail16IndexBoundsCheckILm5ElEESE_Lm5ESF_lEENS9_INSA_ISC_SD_Lm4ESF_lEESJ_SD_Lm5ESF_lEEiiiii,comdat
	.globl	_ZN2at6native12_GLOBAL__N_132replication_pad_forward_kernel3dIN3c107complexIdEEEEvN5torch10headeronly6detail27GenericPackedTensorAccessorINS8_14TensorAccessorINS3_8ArrayRefIlEEKT_Lm4ENS7_16DefaultPtrTraitsElEENS_6detail16IndexBoundsCheckILm5ElEESE_Lm5ESF_lEENS9_INSA_ISC_SD_Lm4ESF_lEESJ_SD_Lm5ESF_lEEiiiii ; -- Begin function _ZN2at6native12_GLOBAL__N_132replication_pad_forward_kernel3dIN3c107complexIdEEEEvN5torch10headeronly6detail27GenericPackedTensorAccessorINS8_14TensorAccessorINS3_8ArrayRefIlEEKT_Lm4ENS7_16DefaultPtrTraitsElEENS_6detail16IndexBoundsCheckILm5ElEESE_Lm5ESF_lEENS9_INSA_ISC_SD_Lm4ESF_lEESJ_SD_Lm5ESF_lEEiiiii
	.p2align	8
	.type	_ZN2at6native12_GLOBAL__N_132replication_pad_forward_kernel3dIN3c107complexIdEEEEvN5torch10headeronly6detail27GenericPackedTensorAccessorINS8_14TensorAccessorINS3_8ArrayRefIlEEKT_Lm4ENS7_16DefaultPtrTraitsElEENS_6detail16IndexBoundsCheckILm5ElEESE_Lm5ESF_lEENS9_INSA_ISC_SD_Lm4ESF_lEESJ_SD_Lm5ESF_lEEiiiii,@function
_ZN2at6native12_GLOBAL__N_132replication_pad_forward_kernel3dIN3c107complexIdEEEEvN5torch10headeronly6detail27GenericPackedTensorAccessorINS8_14TensorAccessorINS3_8ArrayRefIlEEKT_Lm4ENS7_16DefaultPtrTraitsElEENS_6detail16IndexBoundsCheckILm5ElEESE_Lm5ESF_lEENS9_INSA_ISC_SD_Lm4ESF_lEESJ_SD_Lm5ESF_lEEiiiii: ; @_ZN2at6native12_GLOBAL__N_132replication_pad_forward_kernel3dIN3c107complexIdEEEEvN5torch10headeronly6detail27GenericPackedTensorAccessorINS8_14TensorAccessorINS3_8ArrayRefIlEEKT_Lm4ENS7_16DefaultPtrTraitsElEENS_6detail16IndexBoundsCheckILm5ElEESE_Lm5ESF_lEENS9_INSA_ISC_SD_Lm4ESF_lEESJ_SD_Lm5ESF_lEEiiiii
; %bb.0:
	s_clause 0x2
	s_load_b32 s2, s[0:1], 0xd4
	s_load_b128 s[4:7], s[0:1], 0x70
	s_load_b64 s[8:9], s[0:1], 0x80
	s_waitcnt lgkmcnt(0)
	s_and_b32 s2, s2, 0xffff
	s_delay_alu instid0(SALU_CYCLE_1)
	v_mad_u64_u32 v[1:2], null, s13, s2, v[0:1]
	s_mul_i32 s10, s8, s7
	s_mul_hi_u32 s11, s8, s6
	s_mul_i32 s2, s9, s6
	s_mul_i32 s3, s8, s6
	s_add_i32 s12, s11, s10
	s_mul_i32 s5, s3, s5
	s_mul_hi_u32 s10, s3, s4
	s_add_i32 s12, s12, s2
	v_ashrrev_i32_e32 v2, 31, v1
	s_add_i32 s2, s10, s5
	s_mul_i32 s5, s12, s4
	s_mul_i32 s4, s3, s4
	s_add_i32 s5, s2, s5
	s_mov_b32 s2, exec_lo
	v_cmpx_gt_i64_e64 s[4:5], v[1:2]
	s_cbranch_execz .LBB47_14
; %bb.1:
	v_or_b32_e32 v4, s9, v2
	v_mov_b32_e32 v3, 0
                                        ; implicit-def: $vgpr5_vgpr6
	s_mov_b32 s2, exec_lo
	s_delay_alu instid0(VALU_DEP_1)
	v_cmpx_ne_u64_e32 0, v[3:4]
	s_xor_b32 s13, exec_lo, s2
	s_cbranch_execz .LBB47_3
; %bb.2:
	s_ashr_i32 s4, s9, 31
	s_delay_alu instid0(SALU_CYCLE_1) | instskip(SKIP_2) | instid1(SALU_CYCLE_1)
	s_add_u32 s10, s8, s4
	s_mov_b32 s5, s4
	s_addc_u32 s11, s9, s4
	s_xor_b64 s[10:11], s[10:11], s[4:5]
	s_delay_alu instid0(SALU_CYCLE_1) | instskip(SKIP_3) | instid1(VALU_DEP_1)
	v_cvt_f32_u32_e32 v0, s10
	v_cvt_f32_u32_e32 v3, s11
	s_sub_u32 s2, 0, s10
	s_subb_u32 s5, 0, s11
	v_fmamk_f32 v0, v3, 0x4f800000, v0
	s_delay_alu instid0(VALU_DEP_1) | instskip(SKIP_2) | instid1(VALU_DEP_1)
	v_rcp_f32_e32 v0, v0
	s_waitcnt_depctr 0xfff
	v_mul_f32_e32 v0, 0x5f7ffffc, v0
	v_mul_f32_e32 v3, 0x2f800000, v0
	s_delay_alu instid0(VALU_DEP_1) | instskip(NEXT) | instid1(VALU_DEP_1)
	v_trunc_f32_e32 v3, v3
	v_fmamk_f32 v0, v3, 0xcf800000, v0
	v_cvt_u32_f32_e32 v3, v3
	s_delay_alu instid0(VALU_DEP_2) | instskip(NEXT) | instid1(VALU_DEP_2)
	v_cvt_u32_f32_e32 v0, v0
	v_mul_lo_u32 v4, s2, v3
	s_delay_alu instid0(VALU_DEP_2) | instskip(SKIP_1) | instid1(VALU_DEP_2)
	v_mul_hi_u32 v5, s2, v0
	v_mul_lo_u32 v6, s5, v0
	v_add_nc_u32_e32 v4, v5, v4
	v_mul_lo_u32 v5, s2, v0
	s_delay_alu instid0(VALU_DEP_2) | instskip(NEXT) | instid1(VALU_DEP_2)
	v_add_nc_u32_e32 v4, v4, v6
	v_mul_hi_u32 v6, v0, v5
	s_delay_alu instid0(VALU_DEP_2)
	v_mul_lo_u32 v7, v0, v4
	v_mul_hi_u32 v8, v0, v4
	v_mul_hi_u32 v9, v3, v5
	v_mul_lo_u32 v5, v3, v5
	v_mul_hi_u32 v10, v3, v4
	v_mul_lo_u32 v4, v3, v4
	v_add_co_u32 v6, vcc_lo, v6, v7
	v_add_co_ci_u32_e32 v7, vcc_lo, 0, v8, vcc_lo
	s_delay_alu instid0(VALU_DEP_2) | instskip(NEXT) | instid1(VALU_DEP_2)
	v_add_co_u32 v5, vcc_lo, v6, v5
	v_add_co_ci_u32_e32 v5, vcc_lo, v7, v9, vcc_lo
	v_add_co_ci_u32_e32 v6, vcc_lo, 0, v10, vcc_lo
	v_ashrrev_i32_e32 v9, 31, v2
	s_delay_alu instid0(VALU_DEP_3) | instskip(NEXT) | instid1(VALU_DEP_3)
	v_add_co_u32 v4, vcc_lo, v5, v4
	v_add_co_ci_u32_e32 v5, vcc_lo, 0, v6, vcc_lo
	s_delay_alu instid0(VALU_DEP_2) | instskip(NEXT) | instid1(VALU_DEP_2)
	v_add_co_u32 v0, vcc_lo, v0, v4
	v_add_co_ci_u32_e32 v3, vcc_lo, v3, v5, vcc_lo
	s_delay_alu instid0(VALU_DEP_2) | instskip(SKIP_1) | instid1(VALU_DEP_3)
	v_mul_hi_u32 v4, s2, v0
	v_mul_lo_u32 v6, s5, v0
	v_mul_lo_u32 v5, s2, v3
	s_delay_alu instid0(VALU_DEP_1) | instskip(SKIP_1) | instid1(VALU_DEP_2)
	v_add_nc_u32_e32 v4, v4, v5
	v_mul_lo_u32 v5, s2, v0
	v_add_nc_u32_e32 v4, v4, v6
	s_delay_alu instid0(VALU_DEP_2) | instskip(NEXT) | instid1(VALU_DEP_2)
	v_mul_hi_u32 v6, v0, v5
	v_mul_lo_u32 v7, v0, v4
	v_mul_hi_u32 v8, v0, v4
	v_mul_hi_u32 v10, v3, v5
	v_mul_lo_u32 v5, v3, v5
	v_mul_hi_u32 v11, v3, v4
	v_mul_lo_u32 v4, v3, v4
	v_add_co_u32 v6, vcc_lo, v6, v7
	v_add_co_ci_u32_e32 v7, vcc_lo, 0, v8, vcc_lo
	s_delay_alu instid0(VALU_DEP_2) | instskip(NEXT) | instid1(VALU_DEP_2)
	v_add_co_u32 v5, vcc_lo, v6, v5
	v_add_co_ci_u32_e32 v5, vcc_lo, v7, v10, vcc_lo
	v_add_co_ci_u32_e32 v6, vcc_lo, 0, v11, vcc_lo
	v_add_co_u32 v7, vcc_lo, v1, v9
	v_add_co_ci_u32_e32 v8, vcc_lo, v2, v9, vcc_lo
	s_delay_alu instid0(VALU_DEP_4) | instskip(NEXT) | instid1(VALU_DEP_4)
	v_add_co_u32 v4, vcc_lo, v5, v4
	v_add_co_ci_u32_e32 v5, vcc_lo, 0, v6, vcc_lo
	s_delay_alu instid0(VALU_DEP_4) | instskip(NEXT) | instid1(VALU_DEP_3)
	v_xor_b32_e32 v10, v7, v9
	v_add_co_u32 v0, vcc_lo, v0, v4
	s_delay_alu instid0(VALU_DEP_3) | instskip(SKIP_1) | instid1(VALU_DEP_3)
	v_add_co_ci_u32_e32 v11, vcc_lo, v3, v5, vcc_lo
	v_xor_b32_e32 v12, v8, v9
	v_mul_hi_u32 v13, v10, v0
	s_delay_alu instid0(VALU_DEP_3) | instskip(NEXT) | instid1(VALU_DEP_3)
	v_mad_u64_u32 v[3:4], null, v10, v11, 0
	v_mad_u64_u32 v[5:6], null, v12, v0, 0
	;; [unrolled: 1-line block ×3, first 2 shown]
	s_delay_alu instid0(VALU_DEP_3) | instskip(NEXT) | instid1(VALU_DEP_4)
	v_add_co_u32 v0, vcc_lo, v13, v3
	v_add_co_ci_u32_e32 v3, vcc_lo, 0, v4, vcc_lo
	s_delay_alu instid0(VALU_DEP_2) | instskip(NEXT) | instid1(VALU_DEP_2)
	v_add_co_u32 v0, vcc_lo, v0, v5
	v_add_co_ci_u32_e32 v0, vcc_lo, v3, v6, vcc_lo
	v_add_co_ci_u32_e32 v3, vcc_lo, 0, v8, vcc_lo
	s_delay_alu instid0(VALU_DEP_2) | instskip(NEXT) | instid1(VALU_DEP_2)
	v_add_co_u32 v0, vcc_lo, v0, v7
	v_add_co_ci_u32_e32 v5, vcc_lo, 0, v3, vcc_lo
	s_delay_alu instid0(VALU_DEP_2) | instskip(SKIP_1) | instid1(VALU_DEP_3)
	v_mul_lo_u32 v6, s11, v0
	v_mad_u64_u32 v[3:4], null, s10, v0, 0
	v_mul_lo_u32 v7, s10, v5
	s_delay_alu instid0(VALU_DEP_2) | instskip(NEXT) | instid1(VALU_DEP_2)
	v_sub_co_u32 v3, vcc_lo, v10, v3
	v_add3_u32 v4, v4, v7, v6
	s_delay_alu instid0(VALU_DEP_1) | instskip(NEXT) | instid1(VALU_DEP_1)
	v_sub_nc_u32_e32 v6, v12, v4
	v_subrev_co_ci_u32_e64 v6, s2, s11, v6, vcc_lo
	v_add_co_u32 v7, s2, v0, 2
	s_delay_alu instid0(VALU_DEP_1) | instskip(SKIP_3) | instid1(VALU_DEP_3)
	v_add_co_ci_u32_e64 v8, s2, 0, v5, s2
	v_sub_co_u32 v10, s2, v3, s10
	v_sub_co_ci_u32_e32 v4, vcc_lo, v12, v4, vcc_lo
	v_subrev_co_ci_u32_e64 v6, s2, 0, v6, s2
	v_cmp_le_u32_e32 vcc_lo, s10, v10
	s_delay_alu instid0(VALU_DEP_3) | instskip(SKIP_1) | instid1(VALU_DEP_4)
	v_cmp_eq_u32_e64 s2, s11, v4
	v_cndmask_b32_e64 v10, 0, -1, vcc_lo
	v_cmp_le_u32_e32 vcc_lo, s11, v6
	v_cndmask_b32_e64 v11, 0, -1, vcc_lo
	v_cmp_le_u32_e32 vcc_lo, s10, v3
	;; [unrolled: 2-line block ×3, first 2 shown]
	v_cndmask_b32_e64 v12, 0, -1, vcc_lo
	v_cmp_eq_u32_e32 vcc_lo, s11, v6
	s_delay_alu instid0(VALU_DEP_2) | instskip(SKIP_3) | instid1(VALU_DEP_3)
	v_cndmask_b32_e64 v3, v12, v3, s2
	v_cndmask_b32_e32 v6, v11, v10, vcc_lo
	v_add_co_u32 v10, vcc_lo, v0, 1
	v_add_co_ci_u32_e32 v11, vcc_lo, 0, v5, vcc_lo
	v_cmp_ne_u32_e32 vcc_lo, 0, v6
	s_delay_alu instid0(VALU_DEP_2) | instskip(NEXT) | instid1(VALU_DEP_4)
	v_cndmask_b32_e32 v4, v11, v8, vcc_lo
	v_cndmask_b32_e32 v6, v10, v7, vcc_lo
	v_cmp_ne_u32_e32 vcc_lo, 0, v3
	v_xor_b32_e32 v3, s4, v9
	s_delay_alu instid0(VALU_DEP_3) | instskip(SKIP_1) | instid1(VALU_DEP_2)
	v_cndmask_b32_e32 v0, v0, v6, vcc_lo
	v_cndmask_b32_e32 v4, v5, v4, vcc_lo
	v_xor_b32_e32 v0, v0, v3
	s_delay_alu instid0(VALU_DEP_2) | instskip(NEXT) | instid1(VALU_DEP_2)
	v_xor_b32_e32 v4, v4, v3
	v_sub_co_u32 v5, vcc_lo, v0, v3
	s_delay_alu instid0(VALU_DEP_2)
	v_sub_co_ci_u32_e32 v6, vcc_lo, v4, v3, vcc_lo
.LBB47_3:
	s_and_not1_saveexec_b32 s2, s13
	s_cbranch_execz .LBB47_5
; %bb.4:
	v_cvt_f32_u32_e32 v0, s8
	s_sub_i32 s4, 0, s8
	v_mov_b32_e32 v6, 0
	s_delay_alu instid0(VALU_DEP_2) | instskip(SKIP_2) | instid1(VALU_DEP_1)
	v_rcp_iflag_f32_e32 v0, v0
	s_waitcnt_depctr 0xfff
	v_mul_f32_e32 v0, 0x4f7ffffe, v0
	v_cvt_u32_f32_e32 v0, v0
	s_delay_alu instid0(VALU_DEP_1) | instskip(NEXT) | instid1(VALU_DEP_1)
	v_mul_lo_u32 v3, s4, v0
	v_mul_hi_u32 v3, v0, v3
	s_delay_alu instid0(VALU_DEP_1) | instskip(NEXT) | instid1(VALU_DEP_1)
	v_add_nc_u32_e32 v0, v0, v3
	v_mul_hi_u32 v0, v1, v0
	s_delay_alu instid0(VALU_DEP_1) | instskip(SKIP_1) | instid1(VALU_DEP_2)
	v_mul_lo_u32 v3, v0, s8
	v_add_nc_u32_e32 v4, 1, v0
	v_sub_nc_u32_e32 v3, v1, v3
	s_delay_alu instid0(VALU_DEP_1) | instskip(SKIP_1) | instid1(VALU_DEP_2)
	v_subrev_nc_u32_e32 v5, s8, v3
	v_cmp_le_u32_e32 vcc_lo, s8, v3
	v_dual_cndmask_b32 v3, v3, v5 :: v_dual_cndmask_b32 v0, v0, v4
	s_delay_alu instid0(VALU_DEP_1) | instskip(NEXT) | instid1(VALU_DEP_2)
	v_cmp_le_u32_e32 vcc_lo, s8, v3
	v_add_nc_u32_e32 v4, 1, v0
	s_delay_alu instid0(VALU_DEP_1)
	v_cndmask_b32_e32 v5, v0, v4, vcc_lo
.LBB47_5:
	s_or_b32 exec_lo, exec_lo, s2
	s_delay_alu instid0(VALU_DEP_1) | instskip(SKIP_1) | instid1(VALU_DEP_1)
	v_or_b32_e32 v4, s7, v6
	v_mov_b32_e32 v3, 0
	v_cmp_ne_u64_e32 vcc_lo, 0, v[3:4]
                                        ; implicit-def: $vgpr3_vgpr4
	s_and_saveexec_b32 s2, vcc_lo
	s_delay_alu instid0(SALU_CYCLE_1)
	s_xor_b32 s10, exec_lo, s2
	s_cbranch_execz .LBB47_7
; %bb.6:
	s_ashr_i32 s4, s7, 31
	s_delay_alu instid0(SALU_CYCLE_1) | instskip(SKIP_2) | instid1(SALU_CYCLE_1)
	s_add_u32 s16, s6, s4
	s_mov_b32 s5, s4
	s_addc_u32 s17, s7, s4
	s_xor_b64 s[4:5], s[16:17], s[4:5]
	s_delay_alu instid0(SALU_CYCLE_1) | instskip(SKIP_3) | instid1(VALU_DEP_1)
	v_cvt_f32_u32_e32 v0, s4
	v_cvt_f32_u32_e32 v3, s5
	s_sub_u32 s2, 0, s4
	s_subb_u32 s7, 0, s5
	v_fmamk_f32 v0, v3, 0x4f800000, v0
	s_delay_alu instid0(VALU_DEP_1) | instskip(SKIP_2) | instid1(VALU_DEP_1)
	v_rcp_f32_e32 v0, v0
	s_waitcnt_depctr 0xfff
	v_mul_f32_e32 v0, 0x5f7ffffc, v0
	v_mul_f32_e32 v3, 0x2f800000, v0
	s_delay_alu instid0(VALU_DEP_1) | instskip(NEXT) | instid1(VALU_DEP_1)
	v_trunc_f32_e32 v3, v3
	v_fmamk_f32 v0, v3, 0xcf800000, v0
	v_cvt_u32_f32_e32 v3, v3
	s_delay_alu instid0(VALU_DEP_2) | instskip(NEXT) | instid1(VALU_DEP_2)
	v_cvt_u32_f32_e32 v0, v0
	v_mul_lo_u32 v4, s2, v3
	s_delay_alu instid0(VALU_DEP_2) | instskip(SKIP_1) | instid1(VALU_DEP_2)
	v_mul_hi_u32 v7, s2, v0
	v_mul_lo_u32 v8, s7, v0
	v_add_nc_u32_e32 v4, v7, v4
	v_mul_lo_u32 v7, s2, v0
	s_delay_alu instid0(VALU_DEP_2) | instskip(NEXT) | instid1(VALU_DEP_2)
	v_add_nc_u32_e32 v4, v4, v8
	v_mul_hi_u32 v8, v0, v7
	s_delay_alu instid0(VALU_DEP_2)
	v_mul_lo_u32 v9, v0, v4
	v_mul_hi_u32 v10, v0, v4
	v_mul_hi_u32 v11, v3, v7
	v_mul_lo_u32 v7, v3, v7
	v_mul_hi_u32 v12, v3, v4
	v_mul_lo_u32 v4, v3, v4
	v_add_co_u32 v8, vcc_lo, v8, v9
	v_add_co_ci_u32_e32 v9, vcc_lo, 0, v10, vcc_lo
	s_delay_alu instid0(VALU_DEP_2) | instskip(NEXT) | instid1(VALU_DEP_2)
	v_add_co_u32 v7, vcc_lo, v8, v7
	v_add_co_ci_u32_e32 v7, vcc_lo, v9, v11, vcc_lo
	v_add_co_ci_u32_e32 v8, vcc_lo, 0, v12, vcc_lo
	v_ashrrev_i32_e32 v11, 31, v6
	s_delay_alu instid0(VALU_DEP_3) | instskip(NEXT) | instid1(VALU_DEP_3)
	v_add_co_u32 v4, vcc_lo, v7, v4
	v_add_co_ci_u32_e32 v7, vcc_lo, 0, v8, vcc_lo
	s_delay_alu instid0(VALU_DEP_2) | instskip(NEXT) | instid1(VALU_DEP_2)
	v_add_co_u32 v0, vcc_lo, v0, v4
	v_add_co_ci_u32_e32 v3, vcc_lo, v3, v7, vcc_lo
	s_delay_alu instid0(VALU_DEP_2) | instskip(SKIP_1) | instid1(VALU_DEP_3)
	v_mul_hi_u32 v4, s2, v0
	v_mul_lo_u32 v8, s7, v0
	v_mul_lo_u32 v7, s2, v3
	s_delay_alu instid0(VALU_DEP_1) | instskip(SKIP_1) | instid1(VALU_DEP_2)
	v_add_nc_u32_e32 v4, v4, v7
	v_mul_lo_u32 v7, s2, v0
	v_add_nc_u32_e32 v4, v4, v8
	s_delay_alu instid0(VALU_DEP_2) | instskip(NEXT) | instid1(VALU_DEP_2)
	v_mul_hi_u32 v8, v0, v7
	v_mul_lo_u32 v9, v0, v4
	v_mul_hi_u32 v10, v0, v4
	v_mul_hi_u32 v12, v3, v7
	v_mul_lo_u32 v7, v3, v7
	v_mul_hi_u32 v13, v3, v4
	v_mul_lo_u32 v4, v3, v4
	v_add_co_u32 v8, vcc_lo, v8, v9
	v_add_co_ci_u32_e32 v9, vcc_lo, 0, v10, vcc_lo
	s_delay_alu instid0(VALU_DEP_2) | instskip(NEXT) | instid1(VALU_DEP_2)
	v_add_co_u32 v7, vcc_lo, v8, v7
	v_add_co_ci_u32_e32 v7, vcc_lo, v9, v12, vcc_lo
	v_add_co_ci_u32_e32 v8, vcc_lo, 0, v13, vcc_lo
	v_add_co_u32 v9, vcc_lo, v5, v11
	v_add_co_ci_u32_e32 v10, vcc_lo, v6, v11, vcc_lo
	s_delay_alu instid0(VALU_DEP_4) | instskip(NEXT) | instid1(VALU_DEP_4)
	v_add_co_u32 v4, vcc_lo, v7, v4
	v_add_co_ci_u32_e32 v7, vcc_lo, 0, v8, vcc_lo
	s_delay_alu instid0(VALU_DEP_4) | instskip(NEXT) | instid1(VALU_DEP_3)
	v_xor_b32_e32 v12, v9, v11
	v_add_co_u32 v0, vcc_lo, v0, v4
	s_delay_alu instid0(VALU_DEP_3) | instskip(SKIP_1) | instid1(VALU_DEP_3)
	v_add_co_ci_u32_e32 v13, vcc_lo, v3, v7, vcc_lo
	v_xor_b32_e32 v14, v10, v11
	v_mul_hi_u32 v15, v12, v0
	s_delay_alu instid0(VALU_DEP_3) | instskip(NEXT) | instid1(VALU_DEP_3)
	v_mad_u64_u32 v[3:4], null, v12, v13, 0
	v_mad_u64_u32 v[7:8], null, v14, v0, 0
	;; [unrolled: 1-line block ×3, first 2 shown]
	s_delay_alu instid0(VALU_DEP_3) | instskip(NEXT) | instid1(VALU_DEP_4)
	v_add_co_u32 v0, vcc_lo, v15, v3
	v_add_co_ci_u32_e32 v3, vcc_lo, 0, v4, vcc_lo
	s_delay_alu instid0(VALU_DEP_2) | instskip(NEXT) | instid1(VALU_DEP_2)
	v_add_co_u32 v0, vcc_lo, v0, v7
	v_add_co_ci_u32_e32 v0, vcc_lo, v3, v8, vcc_lo
	v_add_co_ci_u32_e32 v3, vcc_lo, 0, v10, vcc_lo
	s_delay_alu instid0(VALU_DEP_2) | instskip(NEXT) | instid1(VALU_DEP_2)
	v_add_co_u32 v0, vcc_lo, v0, v9
	v_add_co_ci_u32_e32 v7, vcc_lo, 0, v3, vcc_lo
	s_delay_alu instid0(VALU_DEP_2) | instskip(SKIP_1) | instid1(VALU_DEP_3)
	v_mul_lo_u32 v8, s5, v0
	v_mad_u64_u32 v[3:4], null, s4, v0, 0
	v_mul_lo_u32 v0, s4, v7
	s_delay_alu instid0(VALU_DEP_2) | instskip(NEXT) | instid1(VALU_DEP_2)
	v_sub_co_u32 v3, vcc_lo, v12, v3
	v_add3_u32 v0, v4, v0, v8
	s_delay_alu instid0(VALU_DEP_1) | instskip(NEXT) | instid1(VALU_DEP_1)
	v_sub_nc_u32_e32 v4, v14, v0
	v_subrev_co_ci_u32_e64 v4, s2, s5, v4, vcc_lo
	s_delay_alu instid0(VALU_DEP_4) | instskip(SKIP_1) | instid1(VALU_DEP_3)
	v_sub_co_u32 v7, s2, v3, s4
	v_sub_co_ci_u32_e32 v0, vcc_lo, v14, v0, vcc_lo
	v_subrev_co_ci_u32_e64 v4, s2, 0, v4, s2
	s_delay_alu instid0(VALU_DEP_3) | instskip(SKIP_1) | instid1(VALU_DEP_3)
	v_cmp_le_u32_e32 vcc_lo, s4, v7
	v_cndmask_b32_e64 v8, 0, -1, vcc_lo
	v_cmp_le_u32_e32 vcc_lo, s5, v4
	v_cndmask_b32_e64 v9, 0, -1, vcc_lo
	;; [unrolled: 2-line block ×4, first 2 shown]
	v_cmp_eq_u32_e32 vcc_lo, s5, v4
	v_cndmask_b32_e32 v4, v9, v8, vcc_lo
	v_sub_co_u32 v8, vcc_lo, v7, s4
	v_cmp_eq_u32_e32 vcc_lo, s5, v0
	v_cndmask_b32_e32 v0, v12, v10, vcc_lo
	s_delay_alu instid0(VALU_DEP_4) | instskip(NEXT) | instid1(VALU_DEP_4)
	v_cmp_ne_u32_e32 vcc_lo, 0, v4
	v_cndmask_b32_e32 v4, v7, v8, vcc_lo
	s_delay_alu instid0(VALU_DEP_3) | instskip(NEXT) | instid1(VALU_DEP_2)
	v_cmp_ne_u32_e32 vcc_lo, 0, v0
	v_cndmask_b32_e32 v0, v3, v4, vcc_lo
	s_delay_alu instid0(VALU_DEP_1) | instskip(NEXT) | instid1(VALU_DEP_1)
	v_xor_b32_e32 v0, v0, v11
	v_sub_co_u32 v3, vcc_lo, v0, v11
.LBB47_7:
	s_and_not1_saveexec_b32 s2, s10
	s_cbranch_execz .LBB47_9
; %bb.8:
	v_cvt_f32_u32_e32 v0, s6
	s_sub_i32 s4, 0, s6
	s_delay_alu instid0(VALU_DEP_1) | instskip(SKIP_2) | instid1(VALU_DEP_1)
	v_rcp_iflag_f32_e32 v0, v0
	s_waitcnt_depctr 0xfff
	v_mul_f32_e32 v0, 0x4f7ffffe, v0
	v_cvt_u32_f32_e32 v0, v0
	s_delay_alu instid0(VALU_DEP_1) | instskip(NEXT) | instid1(VALU_DEP_1)
	v_mul_lo_u32 v3, s4, v0
	v_mul_hi_u32 v3, v0, v3
	s_delay_alu instid0(VALU_DEP_1) | instskip(NEXT) | instid1(VALU_DEP_1)
	v_add_nc_u32_e32 v0, v0, v3
	v_mul_hi_u32 v0, v5, v0
	s_delay_alu instid0(VALU_DEP_1) | instskip(NEXT) | instid1(VALU_DEP_1)
	v_mul_lo_u32 v0, v0, s6
	v_sub_nc_u32_e32 v0, v5, v0
	s_delay_alu instid0(VALU_DEP_1) | instskip(SKIP_1) | instid1(VALU_DEP_2)
	v_subrev_nc_u32_e32 v3, s6, v0
	v_cmp_le_u32_e32 vcc_lo, s6, v0
	v_cndmask_b32_e32 v0, v0, v3, vcc_lo
	s_delay_alu instid0(VALU_DEP_1) | instskip(SKIP_1) | instid1(VALU_DEP_2)
	v_subrev_nc_u32_e32 v3, s6, v0
	v_cmp_le_u32_e32 vcc_lo, s6, v0
	v_cndmask_b32_e32 v3, v0, v3, vcc_lo
.LBB47_9:
	s_or_b32 exec_lo, exec_lo, s2
	v_or_b32_e32 v8, s12, v2
	v_mov_b32_e32 v7, 0
	s_delay_alu instid0(VALU_DEP_1) | instskip(SKIP_1) | instid1(SALU_CYCLE_1)
	v_cmp_ne_u64_e32 vcc_lo, 0, v[7:8]
                                        ; implicit-def: $vgpr7_vgpr8
	s_and_saveexec_b32 s2, vcc_lo
	s_xor_b32 s10, exec_lo, s2
	s_cbranch_execz .LBB47_11
; %bb.10:
	s_ashr_i32 s4, s12, 31
	s_delay_alu instid0(SALU_CYCLE_1) | instskip(SKIP_2) | instid1(SALU_CYCLE_1)
	s_add_u32 s6, s3, s4
	s_mov_b32 s5, s4
	s_addc_u32 s7, s12, s4
	s_xor_b64 s[6:7], s[6:7], s[4:5]
	s_delay_alu instid0(SALU_CYCLE_1) | instskip(SKIP_3) | instid1(VALU_DEP_1)
	v_cvt_f32_u32_e32 v0, s6
	v_cvt_f32_u32_e32 v4, s7
	s_sub_u32 s2, 0, s6
	s_subb_u32 s5, 0, s7
	v_fmamk_f32 v0, v4, 0x4f800000, v0
	s_delay_alu instid0(VALU_DEP_1) | instskip(SKIP_2) | instid1(VALU_DEP_1)
	v_rcp_f32_e32 v0, v0
	s_waitcnt_depctr 0xfff
	v_mul_f32_e32 v0, 0x5f7ffffc, v0
	v_mul_f32_e32 v4, 0x2f800000, v0
	s_delay_alu instid0(VALU_DEP_1) | instskip(NEXT) | instid1(VALU_DEP_1)
	v_trunc_f32_e32 v4, v4
	v_fmamk_f32 v0, v4, 0xcf800000, v0
	v_cvt_u32_f32_e32 v4, v4
	s_delay_alu instid0(VALU_DEP_2) | instskip(NEXT) | instid1(VALU_DEP_2)
	v_cvt_u32_f32_e32 v0, v0
	v_mul_lo_u32 v7, s2, v4
	s_delay_alu instid0(VALU_DEP_2) | instskip(SKIP_1) | instid1(VALU_DEP_2)
	v_mul_hi_u32 v8, s2, v0
	v_mul_lo_u32 v9, s5, v0
	v_add_nc_u32_e32 v7, v8, v7
	v_mul_lo_u32 v8, s2, v0
	s_delay_alu instid0(VALU_DEP_2) | instskip(NEXT) | instid1(VALU_DEP_2)
	v_add_nc_u32_e32 v7, v7, v9
	v_mul_hi_u32 v9, v0, v8
	s_delay_alu instid0(VALU_DEP_2)
	v_mul_lo_u32 v10, v0, v7
	v_mul_hi_u32 v11, v0, v7
	v_mul_hi_u32 v12, v4, v8
	v_mul_lo_u32 v8, v4, v8
	v_mul_hi_u32 v13, v4, v7
	v_mul_lo_u32 v7, v4, v7
	v_add_co_u32 v9, vcc_lo, v9, v10
	v_add_co_ci_u32_e32 v10, vcc_lo, 0, v11, vcc_lo
	s_delay_alu instid0(VALU_DEP_2) | instskip(NEXT) | instid1(VALU_DEP_2)
	v_add_co_u32 v8, vcc_lo, v9, v8
	v_add_co_ci_u32_e32 v8, vcc_lo, v10, v12, vcc_lo
	v_add_co_ci_u32_e32 v9, vcc_lo, 0, v13, vcc_lo
	v_mov_b32_e32 v13, v2
	s_delay_alu instid0(VALU_DEP_3) | instskip(NEXT) | instid1(VALU_DEP_3)
	v_add_co_u32 v7, vcc_lo, v8, v7
	v_add_co_ci_u32_e32 v8, vcc_lo, 0, v9, vcc_lo
	v_mov_b32_e32 v12, v2
	s_delay_alu instid0(VALU_DEP_3) | instskip(NEXT) | instid1(VALU_DEP_3)
	v_add_co_u32 v0, vcc_lo, v0, v7
	v_add_co_ci_u32_e32 v4, vcc_lo, v4, v8, vcc_lo
	s_delay_alu instid0(VALU_DEP_2) | instskip(SKIP_1) | instid1(VALU_DEP_3)
	v_mul_hi_u32 v7, s2, v0
	v_mul_lo_u32 v9, s5, v0
	v_mul_lo_u32 v8, s2, v4
	s_delay_alu instid0(VALU_DEP_1) | instskip(SKIP_1) | instid1(VALU_DEP_2)
	v_add_nc_u32_e32 v7, v7, v8
	v_mul_lo_u32 v8, s2, v0
	v_add_nc_u32_e32 v7, v7, v9
	s_delay_alu instid0(VALU_DEP_2) | instskip(NEXT) | instid1(VALU_DEP_2)
	v_mul_hi_u32 v9, v0, v8
	v_mul_lo_u32 v10, v0, v7
	v_mul_hi_u32 v11, v0, v7
	v_mul_hi_u32 v14, v4, v8
	v_mul_lo_u32 v8, v4, v8
	v_mul_hi_u32 v15, v4, v7
	v_mul_lo_u32 v7, v4, v7
	v_add_co_u32 v9, vcc_lo, v9, v10
	v_add_co_ci_u32_e32 v10, vcc_lo, 0, v11, vcc_lo
	s_delay_alu instid0(VALU_DEP_2) | instskip(NEXT) | instid1(VALU_DEP_2)
	v_add_co_u32 v8, vcc_lo, v9, v8
	v_add_co_ci_u32_e32 v8, vcc_lo, v10, v14, vcc_lo
	v_add_co_ci_u32_e32 v9, vcc_lo, 0, v15, vcc_lo
	v_add_co_u32 v10, vcc_lo, v1, v13
	v_add_co_ci_u32_e32 v11, vcc_lo, v2, v12, vcc_lo
	s_delay_alu instid0(VALU_DEP_4) | instskip(NEXT) | instid1(VALU_DEP_4)
	v_add_co_u32 v7, vcc_lo, v8, v7
	v_add_co_ci_u32_e32 v8, vcc_lo, 0, v9, vcc_lo
	s_delay_alu instid0(VALU_DEP_4) | instskip(NEXT) | instid1(VALU_DEP_3)
	v_xor_b32_e32 v14, v10, v13
	v_add_co_u32 v0, vcc_lo, v0, v7
	s_delay_alu instid0(VALU_DEP_3) | instskip(SKIP_1) | instid1(VALU_DEP_3)
	v_add_co_ci_u32_e32 v4, vcc_lo, v4, v8, vcc_lo
	v_xor_b32_e32 v15, v11, v12
	v_mul_hi_u32 v16, v14, v0
	s_delay_alu instid0(VALU_DEP_3) | instskip(NEXT) | instid1(VALU_DEP_3)
	v_mad_u64_u32 v[7:8], null, v14, v4, 0
	v_mad_u64_u32 v[9:10], null, v15, v0, 0
	;; [unrolled: 1-line block ×3, first 2 shown]
	s_delay_alu instid0(VALU_DEP_3) | instskip(NEXT) | instid1(VALU_DEP_4)
	v_add_co_u32 v0, vcc_lo, v16, v7
	v_add_co_ci_u32_e32 v4, vcc_lo, 0, v8, vcc_lo
	s_delay_alu instid0(VALU_DEP_2) | instskip(NEXT) | instid1(VALU_DEP_2)
	v_add_co_u32 v0, vcc_lo, v0, v9
	v_add_co_ci_u32_e32 v0, vcc_lo, v4, v10, vcc_lo
	v_add_co_ci_u32_e32 v4, vcc_lo, 0, v12, vcc_lo
	s_delay_alu instid0(VALU_DEP_2) | instskip(NEXT) | instid1(VALU_DEP_2)
	v_add_co_u32 v0, vcc_lo, v0, v11
	v_add_co_ci_u32_e32 v4, vcc_lo, 0, v4, vcc_lo
	s_delay_alu instid0(VALU_DEP_2) | instskip(SKIP_1) | instid1(VALU_DEP_3)
	v_mul_lo_u32 v9, s7, v0
	v_mad_u64_u32 v[7:8], null, s6, v0, 0
	v_mul_lo_u32 v4, s6, v4
	s_delay_alu instid0(VALU_DEP_2) | instskip(NEXT) | instid1(VALU_DEP_2)
	v_sub_co_u32 v7, vcc_lo, v14, v7
	v_add3_u32 v4, v8, v4, v9
	v_add_co_u32 v9, s2, v0, 2
	s_delay_alu instid0(VALU_DEP_2) | instskip(NEXT) | instid1(VALU_DEP_1)
	v_sub_nc_u32_e32 v8, v15, v4
	v_subrev_co_ci_u32_e64 v8, s2, s7, v8, vcc_lo
	v_sub_co_u32 v10, s2, v7, s6
	v_sub_co_ci_u32_e32 v4, vcc_lo, v15, v4, vcc_lo
	s_delay_alu instid0(VALU_DEP_3) | instskip(NEXT) | instid1(VALU_DEP_3)
	v_subrev_co_ci_u32_e64 v8, s2, 0, v8, s2
	v_cmp_le_u32_e32 vcc_lo, s6, v10
	v_cndmask_b32_e64 v10, 0, -1, vcc_lo
	s_delay_alu instid0(VALU_DEP_3)
	v_cmp_le_u32_e32 vcc_lo, s7, v8
	v_cndmask_b32_e64 v11, 0, -1, vcc_lo
	v_cmp_le_u32_e32 vcc_lo, s6, v7
	v_cndmask_b32_e64 v7, 0, -1, vcc_lo
	;; [unrolled: 2-line block ×3, first 2 shown]
	v_cmp_eq_u32_e32 vcc_lo, s7, v8
	v_cndmask_b32_e32 v8, v11, v10, vcc_lo
	v_add_co_u32 v10, vcc_lo, v0, 1
	v_cmp_eq_u32_e32 vcc_lo, s7, v4
	v_cndmask_b32_e32 v4, v12, v7, vcc_lo
	s_delay_alu instid0(VALU_DEP_4) | instskip(NEXT) | instid1(VALU_DEP_4)
	v_cmp_ne_u32_e32 vcc_lo, 0, v8
	v_cndmask_b32_e32 v7, v10, v9, vcc_lo
	s_delay_alu instid0(VALU_DEP_3) | instskip(SKIP_1) | instid1(VALU_DEP_3)
	v_cmp_ne_u32_e32 vcc_lo, 0, v4
	v_xor_b32_e32 v4, s4, v13
	v_cndmask_b32_e32 v0, v0, v7, vcc_lo
	s_delay_alu instid0(VALU_DEP_1) | instskip(NEXT) | instid1(VALU_DEP_1)
	v_xor_b32_e32 v0, v0, v4
	v_sub_co_u32 v7, vcc_lo, v0, v4
.LBB47_11:
	s_and_not1_saveexec_b32 s2, s10
	s_cbranch_execz .LBB47_13
; %bb.12:
	v_cvt_f32_u32_e32 v0, s3
	s_sub_i32 s4, 0, s3
	s_delay_alu instid0(VALU_DEP_1) | instskip(SKIP_2) | instid1(VALU_DEP_1)
	v_rcp_iflag_f32_e32 v0, v0
	s_waitcnt_depctr 0xfff
	v_mul_f32_e32 v0, 0x4f7ffffe, v0
	v_cvt_u32_f32_e32 v0, v0
	s_delay_alu instid0(VALU_DEP_1) | instskip(NEXT) | instid1(VALU_DEP_1)
	v_mul_lo_u32 v4, s4, v0
	v_mul_hi_u32 v4, v0, v4
	s_delay_alu instid0(VALU_DEP_1) | instskip(NEXT) | instid1(VALU_DEP_1)
	v_add_nc_u32_e32 v0, v0, v4
	v_mul_hi_u32 v0, v1, v0
	s_delay_alu instid0(VALU_DEP_1) | instskip(SKIP_1) | instid1(VALU_DEP_2)
	v_mul_lo_u32 v4, v0, s3
	v_add_nc_u32_e32 v7, 1, v0
	v_sub_nc_u32_e32 v4, v1, v4
	s_delay_alu instid0(VALU_DEP_1) | instskip(SKIP_1) | instid1(VALU_DEP_2)
	v_subrev_nc_u32_e32 v8, s3, v4
	v_cmp_le_u32_e32 vcc_lo, s3, v4
	v_cndmask_b32_e32 v4, v4, v8, vcc_lo
	v_cndmask_b32_e32 v0, v0, v7, vcc_lo
	s_delay_alu instid0(VALU_DEP_2) | instskip(NEXT) | instid1(VALU_DEP_2)
	v_cmp_le_u32_e32 vcc_lo, s3, v4
	v_add_nc_u32_e32 v7, 1, v0
	s_delay_alu instid0(VALU_DEP_1)
	v_cndmask_b32_e32 v7, v0, v7, vcc_lo
.LBB47_13:
	s_or_b32 exec_lo, exec_lo, s2
	s_clause 0x2
	s_load_b32 s10, s[0:1], 0xc0
	s_load_b128 s[4:7], s[0:1], 0xb0
	s_load_b512 s[16:31], s[0:1], 0x18
	v_mul_lo_u32 v0, v6, s8
	v_mul_lo_u32 v4, v5, s9
	v_mad_u64_u32 v[8:9], null, v5, s8, 0
	s_load_b64 s[2:3], s[0:1], 0xa8
	s_delay_alu instid0(VALU_DEP_1) | instskip(NEXT) | instid1(VALU_DEP_2)
	v_add3_u32 v0, v9, v4, v0
	v_sub_co_u32 v6, vcc_lo, v1, v8
	s_delay_alu instid0(VALU_DEP_2)
	v_sub_co_ci_u32_e32 v2, vcc_lo, v2, v0, vcc_lo
	s_waitcnt lgkmcnt(0)
	s_add_i32 s15, s15, s10
	s_add_i32 s14, s14, s7
	;; [unrolled: 1-line block ×3, first 2 shown]
	s_sub_i32 s7, 0, s6
	s_add_i32 s18, s18, -1
	s_sub_i32 s8, 0, s5
	s_add_i32 s19, s6, s20
	s_max_i32 s11, s5, 0
	v_maxmin_i32 v1, s5, v3, s18
	s_add_i32 s5, s4, s16
	s_max_i32 s10, s6, 0
	s_max_i32 s7, s7, 0
	;; [unrolled: 1-line block ×3, first 2 shown]
	s_add_i32 s19, s19, -1
	s_add_i32 s5, s5, -1
	s_sub_i32 s9, 0, s4
	v_maxmin_i32 v0, s6, v6, s19
	s_sub_i32 s6, s7, s10
	s_sub_i32 s7, s12, s11
	s_ashr_i32 s12, s15, 31
	v_maxmin_i32 v4, s4, v7, s5
	s_max_i32 s13, s9, 0
	s_max_i32 s17, s4, 0
	s_load_b64 s[8:9], s[0:1], 0x0
	s_mul_i32 s10, s22, s12
	s_mul_hi_u32 s11, s22, s15
	v_add_nc_u32_e32 v8, s7, v1
	s_add_i32 s4, s11, s10
	s_sub_i32 s10, s13, s17
	s_mul_i32 s5, s23, s15
	v_add_nc_u32_e32 v4, s10, v4
	v_add_nc_u32_e32 v10, s6, v0
	v_ashrrev_i32_e32 v5, 31, v8
	s_add_i32 s5, s4, s5
	s_mul_i32 s4, s22, s15
	v_ashrrev_i32_e32 v1, 31, v4
	v_mul_lo_u32 v11, s27, v4
	s_lshl_b64 s[4:5], s[4:5], 4
	v_mul_lo_u32 v12, s28, v5
	v_mul_lo_u32 v13, s29, v8
	;; [unrolled: 1-line block ×3, first 2 shown]
	v_mad_u64_u32 v[0:1], null, s26, v4, 0
	v_ashrrev_i32_e32 v14, 31, v10
	v_mad_u64_u32 v[4:5], null, s28, v8, 0
	s_waitcnt lgkmcnt(0)
	s_add_u32 s7, s8, s4
	s_addc_u32 s8, s9, s5
	s_ashr_i32 s13, s14, 31
	s_delay_alu instid0(VALU_DEP_3)
	v_add3_u32 v1, v1, v9, v11
	s_mul_i32 s4, s24, s13
	s_mul_hi_u32 s5, s24, s14
	v_mul_lo_u32 v11, s30, v14
	v_mul_lo_u32 v14, s31, v10
	v_mad_u64_u32 v[8:9], null, s30, v10, 0
	s_add_i32 s4, s5, s4
	s_mul_i32 s5, s25, s14
	v_add3_u32 v5, v5, v12, v13
	s_add_i32 s5, s4, s5
	s_mul_i32 s4, s24, s14
	v_lshlrev_b64 v[0:1], 4, v[0:1]
	s_lshl_b64 s[4:5], s[4:5], 4
	v_lshlrev_b64 v[4:5], 4, v[4:5]
	s_add_u32 s4, s7, s4
	v_add3_u32 v9, v9, v11, v14
	s_addc_u32 s5, s8, s5
	v_add_co_u32 v10, vcc_lo, s4, v0
	v_add_co_ci_u32_e32 v11, vcc_lo, s5, v1, vcc_lo
	s_delay_alu instid0(VALU_DEP_3) | instskip(NEXT) | instid1(VALU_DEP_3)
	v_lshlrev_b64 v[0:1], 4, v[8:9]
	v_add_co_u32 v4, vcc_lo, v10, v4
	s_delay_alu instid0(VALU_DEP_3) | instskip(NEXT) | instid1(VALU_DEP_2)
	v_add_co_ci_u32_e32 v5, vcc_lo, v11, v5, vcc_lo
	v_add_co_u32 v0, vcc_lo, v4, v0
	s_delay_alu instid0(VALU_DEP_2)
	v_add_co_ci_u32_e32 v1, vcc_lo, v5, v1, vcc_lo
	v_ashrrev_i32_e32 v4, 31, v3
	global_load_b128 v[8:11], v[0:1], off
	s_clause 0x1
	s_load_b256 s[4:11], s[0:1], 0x88
	s_load_b64 s[0:1], s[0:1], 0x58
	v_ashrrev_i32_e32 v0, 31, v7
	s_waitcnt lgkmcnt(0)
	s_mul_i32 s12, s4, s12
	s_mul_hi_u32 s16, s4, s15
	v_mul_lo_u32 v12, s9, v7
	v_mul_lo_u32 v13, s8, v0
	v_mad_u64_u32 v[0:1], null, s8, v7, 0
	s_add_i32 s12, s16, s12
	s_mul_i32 s5, s5, s15
	s_mul_i32 s4, s4, s15
	s_add_i32 s5, s12, s5
	v_mul_lo_u32 v7, s11, v3
	v_mul_lo_u32 v14, s10, v4
	v_mad_u64_u32 v[4:5], null, s10, v3, 0
	s_lshl_b64 s[4:5], s[4:5], 4
	v_add3_u32 v1, v1, v13, v12
	s_add_u32 s4, s0, s4
	s_addc_u32 s5, s1, s5
	s_mul_i32 s0, s6, s13
	s_mul_hi_u32 s1, s6, s14
	v_mul_lo_u32 v12, s3, v6
	v_mul_lo_u32 v13, s2, v2
	v_mad_u64_u32 v[2:3], null, s2, v6, 0
	s_add_i32 s0, s1, s0
	s_mul_i32 s1, s7, s14
	v_add3_u32 v5, v5, v14, v7
	s_add_i32 s1, s0, s1
	s_mul_i32 s0, s6, s14
	v_lshlrev_b64 v[0:1], 4, v[0:1]
	s_lshl_b64 s[0:1], s[0:1], 4
	v_lshlrev_b64 v[4:5], 4, v[4:5]
	s_add_u32 s0, s4, s0
	v_add3_u32 v3, v3, v13, v12
	s_addc_u32 s1, s5, s1
	v_add_co_u32 v6, vcc_lo, s0, v0
	v_add_co_ci_u32_e32 v7, vcc_lo, s1, v1, vcc_lo
	s_delay_alu instid0(VALU_DEP_3) | instskip(NEXT) | instid1(VALU_DEP_3)
	v_lshlrev_b64 v[0:1], 4, v[2:3]
	v_add_co_u32 v2, vcc_lo, v6, v4
	s_delay_alu instid0(VALU_DEP_3) | instskip(NEXT) | instid1(VALU_DEP_2)
	v_add_co_ci_u32_e32 v3, vcc_lo, v7, v5, vcc_lo
	v_add_co_u32 v0, vcc_lo, v2, v0
	s_delay_alu instid0(VALU_DEP_2)
	v_add_co_ci_u32_e32 v1, vcc_lo, v3, v1, vcc_lo
	s_waitcnt vmcnt(0)
	global_store_b128 v[0:1], v[8:11], off
.LBB47_14:
	s_nop 0
	s_sendmsg sendmsg(MSG_DEALLOC_VGPRS)
	s_endpgm
	.section	.rodata,"a",@progbits
	.p2align	6, 0x0
	.amdhsa_kernel _ZN2at6native12_GLOBAL__N_132replication_pad_forward_kernel3dIN3c107complexIdEEEEvN5torch10headeronly6detail27GenericPackedTensorAccessorINS8_14TensorAccessorINS3_8ArrayRefIlEEKT_Lm4ENS7_16DefaultPtrTraitsElEENS_6detail16IndexBoundsCheckILm5ElEESE_Lm5ESF_lEENS9_INSA_ISC_SD_Lm4ESF_lEESJ_SD_Lm5ESF_lEEiiiii
		.amdhsa_group_segment_fixed_size 0
		.amdhsa_private_segment_fixed_size 0
		.amdhsa_kernarg_size 456
		.amdhsa_user_sgpr_count 13
		.amdhsa_user_sgpr_dispatch_ptr 0
		.amdhsa_user_sgpr_queue_ptr 0
		.amdhsa_user_sgpr_kernarg_segment_ptr 1
		.amdhsa_user_sgpr_dispatch_id 0
		.amdhsa_user_sgpr_private_segment_size 0
		.amdhsa_wavefront_size32 1
		.amdhsa_uses_dynamic_stack 0
		.amdhsa_enable_private_segment 0
		.amdhsa_system_sgpr_workgroup_id_x 1
		.amdhsa_system_sgpr_workgroup_id_y 1
		.amdhsa_system_sgpr_workgroup_id_z 1
		.amdhsa_system_sgpr_workgroup_info 0
		.amdhsa_system_vgpr_workitem_id 0
		.amdhsa_next_free_vgpr 17
		.amdhsa_next_free_sgpr 32
		.amdhsa_reserve_vcc 1
		.amdhsa_float_round_mode_32 0
		.amdhsa_float_round_mode_16_64 0
		.amdhsa_float_denorm_mode_32 3
		.amdhsa_float_denorm_mode_16_64 3
		.amdhsa_dx10_clamp 1
		.amdhsa_ieee_mode 1
		.amdhsa_fp16_overflow 0
		.amdhsa_workgroup_processor_mode 1
		.amdhsa_memory_ordered 1
		.amdhsa_forward_progress 0
		.amdhsa_shared_vgpr_count 0
		.amdhsa_exception_fp_ieee_invalid_op 0
		.amdhsa_exception_fp_denorm_src 0
		.amdhsa_exception_fp_ieee_div_zero 0
		.amdhsa_exception_fp_ieee_overflow 0
		.amdhsa_exception_fp_ieee_underflow 0
		.amdhsa_exception_fp_ieee_inexact 0
		.amdhsa_exception_int_div_zero 0
	.end_amdhsa_kernel
	.section	.text._ZN2at6native12_GLOBAL__N_132replication_pad_forward_kernel3dIN3c107complexIdEEEEvN5torch10headeronly6detail27GenericPackedTensorAccessorINS8_14TensorAccessorINS3_8ArrayRefIlEEKT_Lm4ENS7_16DefaultPtrTraitsElEENS_6detail16IndexBoundsCheckILm5ElEESE_Lm5ESF_lEENS9_INSA_ISC_SD_Lm4ESF_lEESJ_SD_Lm5ESF_lEEiiiii,"axG",@progbits,_ZN2at6native12_GLOBAL__N_132replication_pad_forward_kernel3dIN3c107complexIdEEEEvN5torch10headeronly6detail27GenericPackedTensorAccessorINS8_14TensorAccessorINS3_8ArrayRefIlEEKT_Lm4ENS7_16DefaultPtrTraitsElEENS_6detail16IndexBoundsCheckILm5ElEESE_Lm5ESF_lEENS9_INSA_ISC_SD_Lm4ESF_lEESJ_SD_Lm5ESF_lEEiiiii,comdat
.Lfunc_end47:
	.size	_ZN2at6native12_GLOBAL__N_132replication_pad_forward_kernel3dIN3c107complexIdEEEEvN5torch10headeronly6detail27GenericPackedTensorAccessorINS8_14TensorAccessorINS3_8ArrayRefIlEEKT_Lm4ENS7_16DefaultPtrTraitsElEENS_6detail16IndexBoundsCheckILm5ElEESE_Lm5ESF_lEENS9_INSA_ISC_SD_Lm4ESF_lEESJ_SD_Lm5ESF_lEEiiiii, .Lfunc_end47-_ZN2at6native12_GLOBAL__N_132replication_pad_forward_kernel3dIN3c107complexIdEEEEvN5torch10headeronly6detail27GenericPackedTensorAccessorINS8_14TensorAccessorINS3_8ArrayRefIlEEKT_Lm4ENS7_16DefaultPtrTraitsElEENS_6detail16IndexBoundsCheckILm5ElEESE_Lm5ESF_lEENS9_INSA_ISC_SD_Lm4ESF_lEESJ_SD_Lm5ESF_lEEiiiii
                                        ; -- End function
	.section	.AMDGPU.csdata,"",@progbits
; Kernel info:
; codeLenInByte = 3796
; NumSgprs: 34
; NumVgprs: 17
; ScratchSize: 0
; MemoryBound: 0
; FloatMode: 240
; IeeeMode: 1
; LDSByteSize: 0 bytes/workgroup (compile time only)
; SGPRBlocks: 4
; VGPRBlocks: 2
; NumSGPRsForWavesPerEU: 34
; NumVGPRsForWavesPerEU: 17
; Occupancy: 16
; WaveLimiterHint : 1
; COMPUTE_PGM_RSRC2:SCRATCH_EN: 0
; COMPUTE_PGM_RSRC2:USER_SGPR: 13
; COMPUTE_PGM_RSRC2:TRAP_HANDLER: 0
; COMPUTE_PGM_RSRC2:TGID_X_EN: 1
; COMPUTE_PGM_RSRC2:TGID_Y_EN: 1
; COMPUTE_PGM_RSRC2:TGID_Z_EN: 1
; COMPUTE_PGM_RSRC2:TIDIG_COMP_CNT: 0
	.section	.text._ZN2at6native12_GLOBAL__N_132replication_pad_forward_kernel3dIN3c107complexIfEEEEvN5torch10headeronly6detail27GenericPackedTensorAccessorINS8_14TensorAccessorINS3_8ArrayRefIlEEKT_Lm4ENS7_16DefaultPtrTraitsElEENS_6detail16IndexBoundsCheckILm5ElEESE_Lm5ESF_lEENS9_INSA_ISC_SD_Lm4ESF_lEESJ_SD_Lm5ESF_lEEiiiii,"axG",@progbits,_ZN2at6native12_GLOBAL__N_132replication_pad_forward_kernel3dIN3c107complexIfEEEEvN5torch10headeronly6detail27GenericPackedTensorAccessorINS8_14TensorAccessorINS3_8ArrayRefIlEEKT_Lm4ENS7_16DefaultPtrTraitsElEENS_6detail16IndexBoundsCheckILm5ElEESE_Lm5ESF_lEENS9_INSA_ISC_SD_Lm4ESF_lEESJ_SD_Lm5ESF_lEEiiiii,comdat
	.globl	_ZN2at6native12_GLOBAL__N_132replication_pad_forward_kernel3dIN3c107complexIfEEEEvN5torch10headeronly6detail27GenericPackedTensorAccessorINS8_14TensorAccessorINS3_8ArrayRefIlEEKT_Lm4ENS7_16DefaultPtrTraitsElEENS_6detail16IndexBoundsCheckILm5ElEESE_Lm5ESF_lEENS9_INSA_ISC_SD_Lm4ESF_lEESJ_SD_Lm5ESF_lEEiiiii ; -- Begin function _ZN2at6native12_GLOBAL__N_132replication_pad_forward_kernel3dIN3c107complexIfEEEEvN5torch10headeronly6detail27GenericPackedTensorAccessorINS8_14TensorAccessorINS3_8ArrayRefIlEEKT_Lm4ENS7_16DefaultPtrTraitsElEENS_6detail16IndexBoundsCheckILm5ElEESE_Lm5ESF_lEENS9_INSA_ISC_SD_Lm4ESF_lEESJ_SD_Lm5ESF_lEEiiiii
	.p2align	8
	.type	_ZN2at6native12_GLOBAL__N_132replication_pad_forward_kernel3dIN3c107complexIfEEEEvN5torch10headeronly6detail27GenericPackedTensorAccessorINS8_14TensorAccessorINS3_8ArrayRefIlEEKT_Lm4ENS7_16DefaultPtrTraitsElEENS_6detail16IndexBoundsCheckILm5ElEESE_Lm5ESF_lEENS9_INSA_ISC_SD_Lm4ESF_lEESJ_SD_Lm5ESF_lEEiiiii,@function
_ZN2at6native12_GLOBAL__N_132replication_pad_forward_kernel3dIN3c107complexIfEEEEvN5torch10headeronly6detail27GenericPackedTensorAccessorINS8_14TensorAccessorINS3_8ArrayRefIlEEKT_Lm4ENS7_16DefaultPtrTraitsElEENS_6detail16IndexBoundsCheckILm5ElEESE_Lm5ESF_lEENS9_INSA_ISC_SD_Lm4ESF_lEESJ_SD_Lm5ESF_lEEiiiii: ; @_ZN2at6native12_GLOBAL__N_132replication_pad_forward_kernel3dIN3c107complexIfEEEEvN5torch10headeronly6detail27GenericPackedTensorAccessorINS8_14TensorAccessorINS3_8ArrayRefIlEEKT_Lm4ENS7_16DefaultPtrTraitsElEENS_6detail16IndexBoundsCheckILm5ElEESE_Lm5ESF_lEENS9_INSA_ISC_SD_Lm4ESF_lEESJ_SD_Lm5ESF_lEEiiiii
; %bb.0:
	s_clause 0x2
	s_load_b32 s2, s[0:1], 0xd4
	s_load_b128 s[4:7], s[0:1], 0x70
	s_load_b64 s[8:9], s[0:1], 0x80
	s_waitcnt lgkmcnt(0)
	s_and_b32 s2, s2, 0xffff
	s_delay_alu instid0(SALU_CYCLE_1)
	v_mad_u64_u32 v[1:2], null, s13, s2, v[0:1]
	s_mul_i32 s10, s8, s7
	s_mul_hi_u32 s11, s8, s6
	s_mul_i32 s2, s9, s6
	s_mul_i32 s3, s8, s6
	s_add_i32 s12, s11, s10
	s_mul_i32 s5, s3, s5
	s_mul_hi_u32 s10, s3, s4
	s_add_i32 s12, s12, s2
	v_ashrrev_i32_e32 v2, 31, v1
	s_add_i32 s2, s10, s5
	s_mul_i32 s5, s12, s4
	s_mul_i32 s4, s3, s4
	s_add_i32 s5, s2, s5
	s_mov_b32 s2, exec_lo
	v_cmpx_gt_i64_e64 s[4:5], v[1:2]
	s_cbranch_execz .LBB48_14
; %bb.1:
	v_or_b32_e32 v4, s9, v2
	v_mov_b32_e32 v3, 0
	s_delay_alu instid0(VALU_DEP_1) | instskip(SKIP_1) | instid1(SALU_CYCLE_1)
	v_cmp_ne_u64_e32 vcc_lo, 0, v[3:4]
                                        ; implicit-def: $vgpr3_vgpr4
	s_and_saveexec_b32 s2, vcc_lo
	s_xor_b32 s13, exec_lo, s2
	s_cbranch_execz .LBB48_3
; %bb.2:
	s_ashr_i32 s4, s9, 31
	s_delay_alu instid0(SALU_CYCLE_1) | instskip(SKIP_2) | instid1(SALU_CYCLE_1)
	s_add_u32 s10, s8, s4
	s_mov_b32 s5, s4
	s_addc_u32 s11, s9, s4
	s_xor_b64 s[10:11], s[10:11], s[4:5]
	s_delay_alu instid0(SALU_CYCLE_1) | instskip(SKIP_3) | instid1(VALU_DEP_1)
	v_cvt_f32_u32_e32 v0, s10
	v_cvt_f32_u32_e32 v3, s11
	s_sub_u32 s2, 0, s10
	s_subb_u32 s5, 0, s11
	v_fmamk_f32 v0, v3, 0x4f800000, v0
	s_delay_alu instid0(VALU_DEP_1) | instskip(SKIP_2) | instid1(VALU_DEP_1)
	v_rcp_f32_e32 v0, v0
	s_waitcnt_depctr 0xfff
	v_mul_f32_e32 v0, 0x5f7ffffc, v0
	v_mul_f32_e32 v3, 0x2f800000, v0
	s_delay_alu instid0(VALU_DEP_1) | instskip(NEXT) | instid1(VALU_DEP_1)
	v_trunc_f32_e32 v3, v3
	v_fmamk_f32 v0, v3, 0xcf800000, v0
	v_cvt_u32_f32_e32 v3, v3
	s_delay_alu instid0(VALU_DEP_2) | instskip(NEXT) | instid1(VALU_DEP_2)
	v_cvt_u32_f32_e32 v0, v0
	v_mul_lo_u32 v4, s2, v3
	s_delay_alu instid0(VALU_DEP_2) | instskip(SKIP_1) | instid1(VALU_DEP_2)
	v_mul_hi_u32 v5, s2, v0
	v_mul_lo_u32 v6, s5, v0
	v_add_nc_u32_e32 v4, v5, v4
	v_mul_lo_u32 v5, s2, v0
	s_delay_alu instid0(VALU_DEP_2) | instskip(NEXT) | instid1(VALU_DEP_2)
	v_add_nc_u32_e32 v4, v4, v6
	v_mul_hi_u32 v6, v0, v5
	s_delay_alu instid0(VALU_DEP_2)
	v_mul_lo_u32 v7, v0, v4
	v_mul_hi_u32 v8, v0, v4
	v_mul_hi_u32 v9, v3, v5
	v_mul_lo_u32 v5, v3, v5
	v_mul_hi_u32 v10, v3, v4
	v_mul_lo_u32 v4, v3, v4
	v_add_co_u32 v6, vcc_lo, v6, v7
	v_add_co_ci_u32_e32 v7, vcc_lo, 0, v8, vcc_lo
	s_delay_alu instid0(VALU_DEP_2) | instskip(NEXT) | instid1(VALU_DEP_2)
	v_add_co_u32 v5, vcc_lo, v6, v5
	v_add_co_ci_u32_e32 v5, vcc_lo, v7, v9, vcc_lo
	v_add_co_ci_u32_e32 v6, vcc_lo, 0, v10, vcc_lo
	v_ashrrev_i32_e32 v9, 31, v2
	s_delay_alu instid0(VALU_DEP_3) | instskip(NEXT) | instid1(VALU_DEP_3)
	v_add_co_u32 v4, vcc_lo, v5, v4
	v_add_co_ci_u32_e32 v5, vcc_lo, 0, v6, vcc_lo
	s_delay_alu instid0(VALU_DEP_2) | instskip(NEXT) | instid1(VALU_DEP_2)
	v_add_co_u32 v0, vcc_lo, v0, v4
	v_add_co_ci_u32_e32 v3, vcc_lo, v3, v5, vcc_lo
	s_delay_alu instid0(VALU_DEP_2) | instskip(SKIP_1) | instid1(VALU_DEP_3)
	v_mul_hi_u32 v4, s2, v0
	v_mul_lo_u32 v6, s5, v0
	v_mul_lo_u32 v5, s2, v3
	s_delay_alu instid0(VALU_DEP_1) | instskip(SKIP_1) | instid1(VALU_DEP_2)
	v_add_nc_u32_e32 v4, v4, v5
	v_mul_lo_u32 v5, s2, v0
	v_add_nc_u32_e32 v4, v4, v6
	s_delay_alu instid0(VALU_DEP_2) | instskip(NEXT) | instid1(VALU_DEP_2)
	v_mul_hi_u32 v6, v0, v5
	v_mul_lo_u32 v7, v0, v4
	v_mul_hi_u32 v8, v0, v4
	v_mul_hi_u32 v10, v3, v5
	v_mul_lo_u32 v5, v3, v5
	v_mul_hi_u32 v11, v3, v4
	v_mul_lo_u32 v4, v3, v4
	v_add_co_u32 v6, vcc_lo, v6, v7
	v_add_co_ci_u32_e32 v7, vcc_lo, 0, v8, vcc_lo
	s_delay_alu instid0(VALU_DEP_2) | instskip(NEXT) | instid1(VALU_DEP_2)
	v_add_co_u32 v5, vcc_lo, v6, v5
	v_add_co_ci_u32_e32 v5, vcc_lo, v7, v10, vcc_lo
	v_add_co_ci_u32_e32 v6, vcc_lo, 0, v11, vcc_lo
	v_add_co_u32 v7, vcc_lo, v1, v9
	v_add_co_ci_u32_e32 v8, vcc_lo, v2, v9, vcc_lo
	s_delay_alu instid0(VALU_DEP_4) | instskip(NEXT) | instid1(VALU_DEP_4)
	v_add_co_u32 v4, vcc_lo, v5, v4
	v_add_co_ci_u32_e32 v5, vcc_lo, 0, v6, vcc_lo
	s_delay_alu instid0(VALU_DEP_4) | instskip(NEXT) | instid1(VALU_DEP_3)
	v_xor_b32_e32 v10, v7, v9
	v_add_co_u32 v0, vcc_lo, v0, v4
	s_delay_alu instid0(VALU_DEP_3) | instskip(SKIP_1) | instid1(VALU_DEP_3)
	v_add_co_ci_u32_e32 v11, vcc_lo, v3, v5, vcc_lo
	v_xor_b32_e32 v12, v8, v9
	v_mul_hi_u32 v13, v10, v0
	s_delay_alu instid0(VALU_DEP_3) | instskip(NEXT) | instid1(VALU_DEP_3)
	v_mad_u64_u32 v[3:4], null, v10, v11, 0
	v_mad_u64_u32 v[5:6], null, v12, v0, 0
	;; [unrolled: 1-line block ×3, first 2 shown]
	s_delay_alu instid0(VALU_DEP_3) | instskip(NEXT) | instid1(VALU_DEP_4)
	v_add_co_u32 v0, vcc_lo, v13, v3
	v_add_co_ci_u32_e32 v3, vcc_lo, 0, v4, vcc_lo
	s_delay_alu instid0(VALU_DEP_2) | instskip(NEXT) | instid1(VALU_DEP_2)
	v_add_co_u32 v0, vcc_lo, v0, v5
	v_add_co_ci_u32_e32 v0, vcc_lo, v3, v6, vcc_lo
	v_add_co_ci_u32_e32 v3, vcc_lo, 0, v8, vcc_lo
	s_delay_alu instid0(VALU_DEP_2) | instskip(NEXT) | instid1(VALU_DEP_2)
	v_add_co_u32 v0, vcc_lo, v0, v7
	v_add_co_ci_u32_e32 v5, vcc_lo, 0, v3, vcc_lo
	s_delay_alu instid0(VALU_DEP_2) | instskip(SKIP_1) | instid1(VALU_DEP_3)
	v_mul_lo_u32 v6, s11, v0
	v_mad_u64_u32 v[3:4], null, s10, v0, 0
	v_mul_lo_u32 v7, s10, v5
	s_delay_alu instid0(VALU_DEP_2) | instskip(NEXT) | instid1(VALU_DEP_2)
	v_sub_co_u32 v3, vcc_lo, v10, v3
	v_add3_u32 v4, v4, v7, v6
	s_delay_alu instid0(VALU_DEP_1) | instskip(NEXT) | instid1(VALU_DEP_1)
	v_sub_nc_u32_e32 v6, v12, v4
	v_subrev_co_ci_u32_e64 v6, s2, s11, v6, vcc_lo
	v_add_co_u32 v7, s2, v0, 2
	s_delay_alu instid0(VALU_DEP_1) | instskip(SKIP_3) | instid1(VALU_DEP_3)
	v_add_co_ci_u32_e64 v8, s2, 0, v5, s2
	v_sub_co_u32 v10, s2, v3, s10
	v_sub_co_ci_u32_e32 v4, vcc_lo, v12, v4, vcc_lo
	v_subrev_co_ci_u32_e64 v6, s2, 0, v6, s2
	v_cmp_le_u32_e32 vcc_lo, s10, v10
	s_delay_alu instid0(VALU_DEP_3) | instskip(SKIP_1) | instid1(VALU_DEP_4)
	v_cmp_eq_u32_e64 s2, s11, v4
	v_cndmask_b32_e64 v10, 0, -1, vcc_lo
	v_cmp_le_u32_e32 vcc_lo, s11, v6
	v_cndmask_b32_e64 v11, 0, -1, vcc_lo
	v_cmp_le_u32_e32 vcc_lo, s10, v3
	;; [unrolled: 2-line block ×3, first 2 shown]
	v_cndmask_b32_e64 v12, 0, -1, vcc_lo
	v_cmp_eq_u32_e32 vcc_lo, s11, v6
	s_delay_alu instid0(VALU_DEP_2) | instskip(SKIP_3) | instid1(VALU_DEP_3)
	v_cndmask_b32_e64 v3, v12, v3, s2
	v_cndmask_b32_e32 v6, v11, v10, vcc_lo
	v_add_co_u32 v10, vcc_lo, v0, 1
	v_add_co_ci_u32_e32 v11, vcc_lo, 0, v5, vcc_lo
	v_cmp_ne_u32_e32 vcc_lo, 0, v6
	s_delay_alu instid0(VALU_DEP_2) | instskip(NEXT) | instid1(VALU_DEP_4)
	v_cndmask_b32_e32 v4, v11, v8, vcc_lo
	v_cndmask_b32_e32 v6, v10, v7, vcc_lo
	v_cmp_ne_u32_e32 vcc_lo, 0, v3
	v_xor_b32_e32 v7, s4, v9
	s_delay_alu instid0(VALU_DEP_3) | instskip(NEXT) | instid1(VALU_DEP_1)
	v_dual_cndmask_b32 v0, v0, v6 :: v_dual_cndmask_b32 v3, v5, v4
	v_xor_b32_e32 v0, v0, v7
	s_delay_alu instid0(VALU_DEP_2) | instskip(NEXT) | instid1(VALU_DEP_2)
	v_xor_b32_e32 v4, v3, v7
	v_sub_co_u32 v3, vcc_lo, v0, v7
	s_delay_alu instid0(VALU_DEP_2)
	v_sub_co_ci_u32_e32 v4, vcc_lo, v4, v7, vcc_lo
.LBB48_3:
	s_and_not1_saveexec_b32 s2, s13
	s_cbranch_execz .LBB48_5
; %bb.4:
	v_cvt_f32_u32_e32 v0, s8
	s_sub_i32 s4, 0, s8
	s_delay_alu instid0(VALU_DEP_1) | instskip(SKIP_2) | instid1(VALU_DEP_1)
	v_rcp_iflag_f32_e32 v0, v0
	s_waitcnt_depctr 0xfff
	v_mul_f32_e32 v0, 0x4f7ffffe, v0
	v_cvt_u32_f32_e32 v0, v0
	s_delay_alu instid0(VALU_DEP_1) | instskip(NEXT) | instid1(VALU_DEP_1)
	v_mul_lo_u32 v3, s4, v0
	v_mul_hi_u32 v3, v0, v3
	s_delay_alu instid0(VALU_DEP_1) | instskip(NEXT) | instid1(VALU_DEP_1)
	v_add_nc_u32_e32 v0, v0, v3
	v_mul_hi_u32 v0, v1, v0
	s_delay_alu instid0(VALU_DEP_1) | instskip(SKIP_1) | instid1(VALU_DEP_2)
	v_mul_lo_u32 v3, v0, s8
	v_add_nc_u32_e32 v4, 1, v0
	v_sub_nc_u32_e32 v3, v1, v3
	s_delay_alu instid0(VALU_DEP_1) | instskip(SKIP_1) | instid1(VALU_DEP_2)
	v_subrev_nc_u32_e32 v5, s8, v3
	v_cmp_le_u32_e32 vcc_lo, s8, v3
	v_dual_cndmask_b32 v3, v3, v5 :: v_dual_cndmask_b32 v0, v0, v4
	s_delay_alu instid0(VALU_DEP_1) | instskip(NEXT) | instid1(VALU_DEP_2)
	v_cmp_le_u32_e32 vcc_lo, s8, v3
	v_add_nc_u32_e32 v4, 1, v0
	s_delay_alu instid0(VALU_DEP_1)
	v_dual_cndmask_b32 v3, v0, v4 :: v_dual_mov_b32 v4, 0
.LBB48_5:
	s_or_b32 exec_lo, exec_lo, s2
	s_delay_alu instid0(VALU_DEP_1) | instskip(SKIP_1) | instid1(VALU_DEP_1)
	v_or_b32_e32 v6, s7, v4
	v_mov_b32_e32 v5, 0
	v_cmp_ne_u64_e32 vcc_lo, 0, v[5:6]
                                        ; implicit-def: $vgpr5_vgpr6
	s_and_saveexec_b32 s2, vcc_lo
	s_delay_alu instid0(SALU_CYCLE_1)
	s_xor_b32 s10, exec_lo, s2
	s_cbranch_execz .LBB48_7
; %bb.6:
	s_ashr_i32 s4, s7, 31
	s_delay_alu instid0(SALU_CYCLE_1) | instskip(SKIP_2) | instid1(SALU_CYCLE_1)
	s_add_u32 s16, s6, s4
	s_mov_b32 s5, s4
	s_addc_u32 s17, s7, s4
	s_xor_b64 s[4:5], s[16:17], s[4:5]
	s_delay_alu instid0(SALU_CYCLE_1) | instskip(SKIP_3) | instid1(VALU_DEP_1)
	v_cvt_f32_u32_e32 v0, s4
	v_cvt_f32_u32_e32 v5, s5
	s_sub_u32 s2, 0, s4
	s_subb_u32 s7, 0, s5
	v_fmamk_f32 v0, v5, 0x4f800000, v0
	s_delay_alu instid0(VALU_DEP_1) | instskip(SKIP_2) | instid1(VALU_DEP_1)
	v_rcp_f32_e32 v0, v0
	s_waitcnt_depctr 0xfff
	v_mul_f32_e32 v0, 0x5f7ffffc, v0
	v_mul_f32_e32 v5, 0x2f800000, v0
	s_delay_alu instid0(VALU_DEP_1) | instskip(NEXT) | instid1(VALU_DEP_1)
	v_trunc_f32_e32 v5, v5
	v_fmamk_f32 v0, v5, 0xcf800000, v0
	v_cvt_u32_f32_e32 v5, v5
	s_delay_alu instid0(VALU_DEP_2) | instskip(NEXT) | instid1(VALU_DEP_2)
	v_cvt_u32_f32_e32 v0, v0
	v_mul_lo_u32 v6, s2, v5
	s_delay_alu instid0(VALU_DEP_2) | instskip(SKIP_1) | instid1(VALU_DEP_2)
	v_mul_hi_u32 v7, s2, v0
	v_mul_lo_u32 v8, s7, v0
	v_add_nc_u32_e32 v6, v7, v6
	v_mul_lo_u32 v7, s2, v0
	s_delay_alu instid0(VALU_DEP_2) | instskip(NEXT) | instid1(VALU_DEP_2)
	v_add_nc_u32_e32 v6, v6, v8
	v_mul_hi_u32 v8, v0, v7
	s_delay_alu instid0(VALU_DEP_2)
	v_mul_lo_u32 v9, v0, v6
	v_mul_hi_u32 v10, v0, v6
	v_mul_hi_u32 v11, v5, v7
	v_mul_lo_u32 v7, v5, v7
	v_mul_hi_u32 v12, v5, v6
	v_mul_lo_u32 v6, v5, v6
	v_add_co_u32 v8, vcc_lo, v8, v9
	v_add_co_ci_u32_e32 v9, vcc_lo, 0, v10, vcc_lo
	s_delay_alu instid0(VALU_DEP_2) | instskip(NEXT) | instid1(VALU_DEP_2)
	v_add_co_u32 v7, vcc_lo, v8, v7
	v_add_co_ci_u32_e32 v7, vcc_lo, v9, v11, vcc_lo
	v_add_co_ci_u32_e32 v8, vcc_lo, 0, v12, vcc_lo
	v_ashrrev_i32_e32 v11, 31, v4
	s_delay_alu instid0(VALU_DEP_3) | instskip(NEXT) | instid1(VALU_DEP_3)
	v_add_co_u32 v6, vcc_lo, v7, v6
	v_add_co_ci_u32_e32 v7, vcc_lo, 0, v8, vcc_lo
	s_delay_alu instid0(VALU_DEP_2) | instskip(NEXT) | instid1(VALU_DEP_2)
	v_add_co_u32 v0, vcc_lo, v0, v6
	v_add_co_ci_u32_e32 v5, vcc_lo, v5, v7, vcc_lo
	s_delay_alu instid0(VALU_DEP_2) | instskip(SKIP_1) | instid1(VALU_DEP_3)
	v_mul_hi_u32 v6, s2, v0
	v_mul_lo_u32 v8, s7, v0
	v_mul_lo_u32 v7, s2, v5
	s_delay_alu instid0(VALU_DEP_1) | instskip(SKIP_1) | instid1(VALU_DEP_2)
	v_add_nc_u32_e32 v6, v6, v7
	v_mul_lo_u32 v7, s2, v0
	v_add_nc_u32_e32 v6, v6, v8
	s_delay_alu instid0(VALU_DEP_2) | instskip(NEXT) | instid1(VALU_DEP_2)
	v_mul_hi_u32 v8, v0, v7
	v_mul_lo_u32 v9, v0, v6
	v_mul_hi_u32 v10, v0, v6
	v_mul_hi_u32 v12, v5, v7
	v_mul_lo_u32 v7, v5, v7
	v_mul_hi_u32 v13, v5, v6
	v_mul_lo_u32 v6, v5, v6
	v_add_co_u32 v8, vcc_lo, v8, v9
	v_add_co_ci_u32_e32 v9, vcc_lo, 0, v10, vcc_lo
	s_delay_alu instid0(VALU_DEP_2) | instskip(NEXT) | instid1(VALU_DEP_2)
	v_add_co_u32 v7, vcc_lo, v8, v7
	v_add_co_ci_u32_e32 v7, vcc_lo, v9, v12, vcc_lo
	v_add_co_ci_u32_e32 v8, vcc_lo, 0, v13, vcc_lo
	v_add_co_u32 v9, vcc_lo, v3, v11
	v_add_co_ci_u32_e32 v10, vcc_lo, v4, v11, vcc_lo
	s_delay_alu instid0(VALU_DEP_4) | instskip(NEXT) | instid1(VALU_DEP_4)
	v_add_co_u32 v6, vcc_lo, v7, v6
	v_add_co_ci_u32_e32 v7, vcc_lo, 0, v8, vcc_lo
	s_delay_alu instid0(VALU_DEP_4) | instskip(NEXT) | instid1(VALU_DEP_3)
	v_xor_b32_e32 v12, v9, v11
	v_add_co_u32 v0, vcc_lo, v0, v6
	s_delay_alu instid0(VALU_DEP_3) | instskip(SKIP_1) | instid1(VALU_DEP_3)
	v_add_co_ci_u32_e32 v13, vcc_lo, v5, v7, vcc_lo
	v_xor_b32_e32 v14, v10, v11
	v_mul_hi_u32 v15, v12, v0
	s_delay_alu instid0(VALU_DEP_3) | instskip(NEXT) | instid1(VALU_DEP_3)
	v_mad_u64_u32 v[5:6], null, v12, v13, 0
	v_mad_u64_u32 v[7:8], null, v14, v0, 0
	v_mad_u64_u32 v[9:10], null, v14, v13, 0
	s_delay_alu instid0(VALU_DEP_3) | instskip(NEXT) | instid1(VALU_DEP_4)
	v_add_co_u32 v0, vcc_lo, v15, v5
	v_add_co_ci_u32_e32 v5, vcc_lo, 0, v6, vcc_lo
	s_delay_alu instid0(VALU_DEP_2) | instskip(NEXT) | instid1(VALU_DEP_2)
	v_add_co_u32 v0, vcc_lo, v0, v7
	v_add_co_ci_u32_e32 v0, vcc_lo, v5, v8, vcc_lo
	v_add_co_ci_u32_e32 v5, vcc_lo, 0, v10, vcc_lo
	s_delay_alu instid0(VALU_DEP_2) | instskip(NEXT) | instid1(VALU_DEP_2)
	v_add_co_u32 v0, vcc_lo, v0, v9
	v_add_co_ci_u32_e32 v7, vcc_lo, 0, v5, vcc_lo
	s_delay_alu instid0(VALU_DEP_2) | instskip(SKIP_1) | instid1(VALU_DEP_3)
	v_mul_lo_u32 v8, s5, v0
	v_mad_u64_u32 v[5:6], null, s4, v0, 0
	v_mul_lo_u32 v0, s4, v7
	s_delay_alu instid0(VALU_DEP_2) | instskip(NEXT) | instid1(VALU_DEP_2)
	v_sub_co_u32 v5, vcc_lo, v12, v5
	v_add3_u32 v0, v6, v0, v8
	s_delay_alu instid0(VALU_DEP_1) | instskip(NEXT) | instid1(VALU_DEP_1)
	v_sub_nc_u32_e32 v6, v14, v0
	v_subrev_co_ci_u32_e64 v6, s2, s5, v6, vcc_lo
	s_delay_alu instid0(VALU_DEP_4) | instskip(SKIP_1) | instid1(VALU_DEP_3)
	v_sub_co_u32 v7, s2, v5, s4
	v_sub_co_ci_u32_e32 v0, vcc_lo, v14, v0, vcc_lo
	v_subrev_co_ci_u32_e64 v6, s2, 0, v6, s2
	s_delay_alu instid0(VALU_DEP_3) | instskip(SKIP_1) | instid1(VALU_DEP_3)
	v_cmp_le_u32_e32 vcc_lo, s4, v7
	v_cndmask_b32_e64 v8, 0, -1, vcc_lo
	v_cmp_le_u32_e32 vcc_lo, s5, v6
	v_cndmask_b32_e64 v9, 0, -1, vcc_lo
	;; [unrolled: 2-line block ×4, first 2 shown]
	v_cmp_eq_u32_e32 vcc_lo, s5, v6
	v_cndmask_b32_e32 v6, v9, v8, vcc_lo
	v_sub_co_u32 v8, vcc_lo, v7, s4
	v_cmp_eq_u32_e32 vcc_lo, s5, v0
	v_cndmask_b32_e32 v0, v12, v10, vcc_lo
	s_delay_alu instid0(VALU_DEP_4) | instskip(NEXT) | instid1(VALU_DEP_4)
	v_cmp_ne_u32_e32 vcc_lo, 0, v6
	v_cndmask_b32_e32 v6, v7, v8, vcc_lo
	s_delay_alu instid0(VALU_DEP_3) | instskip(NEXT) | instid1(VALU_DEP_2)
	v_cmp_ne_u32_e32 vcc_lo, 0, v0
	v_cndmask_b32_e32 v0, v5, v6, vcc_lo
	s_delay_alu instid0(VALU_DEP_1) | instskip(NEXT) | instid1(VALU_DEP_1)
	v_xor_b32_e32 v0, v0, v11
	v_sub_co_u32 v5, vcc_lo, v0, v11
.LBB48_7:
	s_and_not1_saveexec_b32 s2, s10
	s_cbranch_execz .LBB48_9
; %bb.8:
	v_cvt_f32_u32_e32 v0, s6
	s_sub_i32 s4, 0, s6
	s_delay_alu instid0(VALU_DEP_1) | instskip(SKIP_2) | instid1(VALU_DEP_1)
	v_rcp_iflag_f32_e32 v0, v0
	s_waitcnt_depctr 0xfff
	v_mul_f32_e32 v0, 0x4f7ffffe, v0
	v_cvt_u32_f32_e32 v0, v0
	s_delay_alu instid0(VALU_DEP_1) | instskip(NEXT) | instid1(VALU_DEP_1)
	v_mul_lo_u32 v5, s4, v0
	v_mul_hi_u32 v5, v0, v5
	s_delay_alu instid0(VALU_DEP_1) | instskip(NEXT) | instid1(VALU_DEP_1)
	v_add_nc_u32_e32 v0, v0, v5
	v_mul_hi_u32 v0, v3, v0
	s_delay_alu instid0(VALU_DEP_1) | instskip(NEXT) | instid1(VALU_DEP_1)
	v_mul_lo_u32 v0, v0, s6
	v_sub_nc_u32_e32 v0, v3, v0
	s_delay_alu instid0(VALU_DEP_1) | instskip(SKIP_1) | instid1(VALU_DEP_2)
	v_subrev_nc_u32_e32 v5, s6, v0
	v_cmp_le_u32_e32 vcc_lo, s6, v0
	v_cndmask_b32_e32 v0, v0, v5, vcc_lo
	s_delay_alu instid0(VALU_DEP_1) | instskip(SKIP_1) | instid1(VALU_DEP_2)
	v_subrev_nc_u32_e32 v5, s6, v0
	v_cmp_le_u32_e32 vcc_lo, s6, v0
	v_cndmask_b32_e32 v5, v0, v5, vcc_lo
.LBB48_9:
	s_or_b32 exec_lo, exec_lo, s2
	v_or_b32_e32 v7, s12, v2
	v_mov_b32_e32 v6, 0
	s_delay_alu instid0(VALU_DEP_1) | instskip(SKIP_1) | instid1(SALU_CYCLE_1)
	v_cmp_ne_u64_e32 vcc_lo, 0, v[6:7]
                                        ; implicit-def: $vgpr6_vgpr7
	s_and_saveexec_b32 s2, vcc_lo
	s_xor_b32 s10, exec_lo, s2
	s_cbranch_execz .LBB48_11
; %bb.10:
	s_ashr_i32 s4, s12, 31
	s_delay_alu instid0(SALU_CYCLE_1) | instskip(SKIP_2) | instid1(SALU_CYCLE_1)
	s_add_u32 s6, s3, s4
	s_mov_b32 s5, s4
	s_addc_u32 s7, s12, s4
	s_xor_b64 s[6:7], s[6:7], s[4:5]
	s_delay_alu instid0(SALU_CYCLE_1) | instskip(SKIP_3) | instid1(VALU_DEP_1)
	v_cvt_f32_u32_e32 v0, s6
	v_cvt_f32_u32_e32 v6, s7
	s_sub_u32 s2, 0, s6
	s_subb_u32 s5, 0, s7
	v_fmamk_f32 v0, v6, 0x4f800000, v0
	s_delay_alu instid0(VALU_DEP_1) | instskip(SKIP_2) | instid1(VALU_DEP_1)
	v_rcp_f32_e32 v0, v0
	s_waitcnt_depctr 0xfff
	v_mul_f32_e32 v0, 0x5f7ffffc, v0
	v_mul_f32_e32 v6, 0x2f800000, v0
	s_delay_alu instid0(VALU_DEP_1) | instskip(NEXT) | instid1(VALU_DEP_1)
	v_trunc_f32_e32 v6, v6
	v_fmamk_f32 v0, v6, 0xcf800000, v0
	v_cvt_u32_f32_e32 v6, v6
	s_delay_alu instid0(VALU_DEP_2) | instskip(NEXT) | instid1(VALU_DEP_2)
	v_cvt_u32_f32_e32 v0, v0
	v_mul_lo_u32 v7, s2, v6
	s_delay_alu instid0(VALU_DEP_2) | instskip(SKIP_1) | instid1(VALU_DEP_2)
	v_mul_hi_u32 v8, s2, v0
	v_mul_lo_u32 v9, s5, v0
	v_add_nc_u32_e32 v7, v8, v7
	v_mul_lo_u32 v8, s2, v0
	s_delay_alu instid0(VALU_DEP_2) | instskip(NEXT) | instid1(VALU_DEP_2)
	v_add_nc_u32_e32 v7, v7, v9
	v_mul_hi_u32 v9, v0, v8
	s_delay_alu instid0(VALU_DEP_2)
	v_mul_lo_u32 v10, v0, v7
	v_mul_hi_u32 v11, v0, v7
	v_mul_hi_u32 v12, v6, v8
	v_mul_lo_u32 v8, v6, v8
	v_mul_hi_u32 v13, v6, v7
	v_mul_lo_u32 v7, v6, v7
	v_add_co_u32 v9, vcc_lo, v9, v10
	v_add_co_ci_u32_e32 v10, vcc_lo, 0, v11, vcc_lo
	s_delay_alu instid0(VALU_DEP_2) | instskip(NEXT) | instid1(VALU_DEP_2)
	v_add_co_u32 v8, vcc_lo, v9, v8
	v_add_co_ci_u32_e32 v8, vcc_lo, v10, v12, vcc_lo
	v_add_co_ci_u32_e32 v9, vcc_lo, 0, v13, vcc_lo
	v_mov_b32_e32 v12, v2
	s_delay_alu instid0(VALU_DEP_3) | instskip(NEXT) | instid1(VALU_DEP_3)
	v_add_co_u32 v7, vcc_lo, v8, v7
	v_add_co_ci_u32_e32 v8, vcc_lo, 0, v9, vcc_lo
	v_mov_b32_e32 v13, v2
	s_delay_alu instid0(VALU_DEP_3) | instskip(NEXT) | instid1(VALU_DEP_3)
	v_add_co_u32 v0, vcc_lo, v0, v7
	v_add_co_ci_u32_e32 v6, vcc_lo, v6, v8, vcc_lo
	s_delay_alu instid0(VALU_DEP_2) | instskip(SKIP_1) | instid1(VALU_DEP_3)
	v_mul_hi_u32 v7, s2, v0
	v_mul_lo_u32 v9, s5, v0
	v_mul_lo_u32 v8, s2, v6
	s_delay_alu instid0(VALU_DEP_1) | instskip(SKIP_1) | instid1(VALU_DEP_2)
	v_add_nc_u32_e32 v7, v7, v8
	v_mul_lo_u32 v8, s2, v0
	v_add_nc_u32_e32 v7, v7, v9
	s_delay_alu instid0(VALU_DEP_2) | instskip(NEXT) | instid1(VALU_DEP_2)
	v_mul_hi_u32 v9, v0, v8
	v_mul_lo_u32 v10, v0, v7
	v_mul_hi_u32 v11, v0, v7
	v_mul_hi_u32 v14, v6, v8
	v_mul_lo_u32 v8, v6, v8
	v_mul_hi_u32 v15, v6, v7
	v_mul_lo_u32 v7, v6, v7
	v_add_co_u32 v9, vcc_lo, v9, v10
	v_add_co_ci_u32_e32 v10, vcc_lo, 0, v11, vcc_lo
	s_delay_alu instid0(VALU_DEP_2) | instskip(NEXT) | instid1(VALU_DEP_2)
	v_add_co_u32 v8, vcc_lo, v9, v8
	v_add_co_ci_u32_e32 v8, vcc_lo, v10, v14, vcc_lo
	v_add_co_ci_u32_e32 v9, vcc_lo, 0, v15, vcc_lo
	v_add_co_u32 v10, vcc_lo, v1, v12
	v_add_co_ci_u32_e32 v11, vcc_lo, v2, v13, vcc_lo
	s_delay_alu instid0(VALU_DEP_4) | instskip(NEXT) | instid1(VALU_DEP_4)
	v_add_co_u32 v7, vcc_lo, v8, v7
	v_add_co_ci_u32_e32 v8, vcc_lo, 0, v9, vcc_lo
	s_delay_alu instid0(VALU_DEP_4) | instskip(NEXT) | instid1(VALU_DEP_3)
	v_xor_b32_e32 v14, v10, v12
	v_add_co_u32 v0, vcc_lo, v0, v7
	s_delay_alu instid0(VALU_DEP_3) | instskip(SKIP_1) | instid1(VALU_DEP_3)
	v_add_co_ci_u32_e32 v15, vcc_lo, v6, v8, vcc_lo
	v_xor_b32_e32 v13, v11, v13
	v_mul_hi_u32 v16, v14, v0
	s_delay_alu instid0(VALU_DEP_3) | instskip(NEXT) | instid1(VALU_DEP_3)
	v_mad_u64_u32 v[6:7], null, v14, v15, 0
	v_mad_u64_u32 v[8:9], null, v13, v0, 0
	;; [unrolled: 1-line block ×3, first 2 shown]
	s_delay_alu instid0(VALU_DEP_3) | instskip(NEXT) | instid1(VALU_DEP_4)
	v_add_co_u32 v0, vcc_lo, v16, v6
	v_add_co_ci_u32_e32 v6, vcc_lo, 0, v7, vcc_lo
	s_delay_alu instid0(VALU_DEP_2) | instskip(NEXT) | instid1(VALU_DEP_2)
	v_add_co_u32 v0, vcc_lo, v0, v8
	v_add_co_ci_u32_e32 v0, vcc_lo, v6, v9, vcc_lo
	v_add_co_ci_u32_e32 v6, vcc_lo, 0, v11, vcc_lo
	s_delay_alu instid0(VALU_DEP_2) | instskip(NEXT) | instid1(VALU_DEP_2)
	v_add_co_u32 v0, vcc_lo, v0, v10
	v_add_co_ci_u32_e32 v8, vcc_lo, 0, v6, vcc_lo
	s_delay_alu instid0(VALU_DEP_2) | instskip(SKIP_1) | instid1(VALU_DEP_3)
	v_mul_lo_u32 v9, s7, v0
	v_mad_u64_u32 v[6:7], null, s6, v0, 0
	v_mul_lo_u32 v8, s6, v8
	s_delay_alu instid0(VALU_DEP_2) | instskip(NEXT) | instid1(VALU_DEP_2)
	v_sub_co_u32 v6, vcc_lo, v14, v6
	v_add3_u32 v7, v7, v8, v9
	v_add_co_u32 v9, s2, v0, 2
	s_delay_alu instid0(VALU_DEP_2) | instskip(NEXT) | instid1(VALU_DEP_1)
	v_sub_nc_u32_e32 v8, v13, v7
	v_subrev_co_ci_u32_e64 v8, s2, s7, v8, vcc_lo
	v_sub_co_u32 v10, s2, v6, s6
	v_sub_co_ci_u32_e32 v7, vcc_lo, v13, v7, vcc_lo
	s_delay_alu instid0(VALU_DEP_3) | instskip(NEXT) | instid1(VALU_DEP_3)
	v_subrev_co_ci_u32_e64 v8, s2, 0, v8, s2
	v_cmp_le_u32_e32 vcc_lo, s6, v10
	v_cndmask_b32_e64 v10, 0, -1, vcc_lo
	s_delay_alu instid0(VALU_DEP_3)
	v_cmp_le_u32_e32 vcc_lo, s7, v8
	v_cndmask_b32_e64 v11, 0, -1, vcc_lo
	v_cmp_le_u32_e32 vcc_lo, s6, v6
	v_cndmask_b32_e64 v6, 0, -1, vcc_lo
	;; [unrolled: 2-line block ×3, first 2 shown]
	v_cmp_eq_u32_e32 vcc_lo, s7, v8
	v_cndmask_b32_e32 v8, v11, v10, vcc_lo
	v_add_co_u32 v10, vcc_lo, v0, 1
	v_cmp_eq_u32_e32 vcc_lo, s7, v7
	v_cndmask_b32_e32 v6, v13, v6, vcc_lo
	s_delay_alu instid0(VALU_DEP_4) | instskip(NEXT) | instid1(VALU_DEP_4)
	v_cmp_ne_u32_e32 vcc_lo, 0, v8
	v_cndmask_b32_e32 v7, v10, v9, vcc_lo
	s_delay_alu instid0(VALU_DEP_3) | instskip(SKIP_1) | instid1(VALU_DEP_3)
	v_cmp_ne_u32_e32 vcc_lo, 0, v6
	v_xor_b32_e32 v6, s4, v12
	v_cndmask_b32_e32 v0, v0, v7, vcc_lo
	s_delay_alu instid0(VALU_DEP_1) | instskip(NEXT) | instid1(VALU_DEP_1)
	v_xor_b32_e32 v0, v0, v6
	v_sub_co_u32 v6, vcc_lo, v0, v6
.LBB48_11:
	s_and_not1_saveexec_b32 s2, s10
	s_cbranch_execz .LBB48_13
; %bb.12:
	v_cvt_f32_u32_e32 v0, s3
	s_sub_i32 s4, 0, s3
	s_delay_alu instid0(VALU_DEP_1) | instskip(SKIP_2) | instid1(VALU_DEP_1)
	v_rcp_iflag_f32_e32 v0, v0
	s_waitcnt_depctr 0xfff
	v_mul_f32_e32 v0, 0x4f7ffffe, v0
	v_cvt_u32_f32_e32 v0, v0
	s_delay_alu instid0(VALU_DEP_1) | instskip(NEXT) | instid1(VALU_DEP_1)
	v_mul_lo_u32 v6, s4, v0
	v_mul_hi_u32 v6, v0, v6
	s_delay_alu instid0(VALU_DEP_1) | instskip(NEXT) | instid1(VALU_DEP_1)
	v_add_nc_u32_e32 v0, v0, v6
	v_mul_hi_u32 v0, v1, v0
	s_delay_alu instid0(VALU_DEP_1) | instskip(SKIP_1) | instid1(VALU_DEP_2)
	v_mul_lo_u32 v6, v0, s3
	v_add_nc_u32_e32 v7, 1, v0
	v_sub_nc_u32_e32 v6, v1, v6
	s_delay_alu instid0(VALU_DEP_1) | instskip(SKIP_1) | instid1(VALU_DEP_2)
	v_subrev_nc_u32_e32 v8, s3, v6
	v_cmp_le_u32_e32 vcc_lo, s3, v6
	v_cndmask_b32_e32 v6, v6, v8, vcc_lo
	v_cndmask_b32_e32 v0, v0, v7, vcc_lo
	s_delay_alu instid0(VALU_DEP_2) | instskip(NEXT) | instid1(VALU_DEP_2)
	v_cmp_le_u32_e32 vcc_lo, s3, v6
	v_add_nc_u32_e32 v7, 1, v0
	s_delay_alu instid0(VALU_DEP_1)
	v_cndmask_b32_e32 v6, v0, v7, vcc_lo
.LBB48_13:
	s_or_b32 exec_lo, exec_lo, s2
	s_clause 0x2
	s_load_b32 s10, s[0:1], 0xc0
	s_load_b128 s[4:7], s[0:1], 0xb0
	s_load_b512 s[16:31], s[0:1], 0x18
	v_mul_lo_u32 v0, v4, s8
	v_mul_lo_u32 v4, v3, s9
	v_mad_u64_u32 v[7:8], null, v3, s8, 0
	s_load_b64 s[2:3], s[0:1], 0xa8
	s_delay_alu instid0(VALU_DEP_1) | instskip(NEXT) | instid1(VALU_DEP_2)
	v_add3_u32 v0, v8, v4, v0
	v_sub_co_u32 v9, vcc_lo, v1, v7
	s_delay_alu instid0(VALU_DEP_2)
	v_sub_co_ci_u32_e32 v4, vcc_lo, v2, v0, vcc_lo
	s_waitcnt lgkmcnt(0)
	s_add_i32 s15, s15, s10
	s_add_i32 s14, s14, s7
	;; [unrolled: 1-line block ×3, first 2 shown]
	s_sub_i32 s7, 0, s6
	s_add_i32 s18, s18, -1
	s_sub_i32 s8, 0, s5
	s_add_i32 s19, s6, s20
	s_max_i32 s11, s5, 0
	v_maxmin_i32 v1, s5, v5, s18
	s_add_i32 s5, s4, s16
	s_max_i32 s10, s6, 0
	s_max_i32 s7, s7, 0
	;; [unrolled: 1-line block ×3, first 2 shown]
	s_add_i32 s19, s19, -1
	s_add_i32 s5, s5, -1
	s_sub_i32 s9, 0, s4
	v_maxmin_i32 v0, s6, v9, s19
	s_sub_i32 s6, s7, s10
	s_sub_i32 s7, s12, s11
	s_ashr_i32 s12, s15, 31
	v_maxmin_i32 v2, s4, v6, s5
	s_max_i32 s13, s9, 0
	s_max_i32 s17, s4, 0
	s_load_b64 s[8:9], s[0:1], 0x0
	s_mul_i32 s10, s22, s12
	s_mul_hi_u32 s11, s22, s15
	v_add_nc_u32_e32 v7, s7, v1
	s_add_i32 s4, s11, s10
	s_sub_i32 s10, s13, s17
	s_mul_i32 s5, s23, s15
	v_add_nc_u32_e32 v2, s10, v2
	v_add_nc_u32_e32 v10, s6, v0
	v_ashrrev_i32_e32 v3, 31, v7
	s_add_i32 s5, s4, s5
	s_mul_i32 s4, s22, s15
	v_ashrrev_i32_e32 v1, 31, v2
	v_mul_lo_u32 v11, s27, v2
	s_lshl_b64 s[4:5], s[4:5], 3
	v_mul_lo_u32 v12, s28, v3
	v_mul_lo_u32 v13, s29, v7
	;; [unrolled: 1-line block ×3, first 2 shown]
	v_mad_u64_u32 v[0:1], null, s26, v2, 0
	v_ashrrev_i32_e32 v14, 31, v10
	v_mad_u64_u32 v[2:3], null, s28, v7, 0
	s_waitcnt lgkmcnt(0)
	s_add_u32 s7, s8, s4
	s_addc_u32 s8, s9, s5
	s_ashr_i32 s13, s14, 31
	s_delay_alu instid0(VALU_DEP_3)
	v_add3_u32 v1, v1, v8, v11
	s_mul_i32 s4, s24, s13
	s_mul_hi_u32 s5, s24, s14
	v_mul_lo_u32 v11, s30, v14
	v_mul_lo_u32 v14, s31, v10
	v_mad_u64_u32 v[7:8], null, s30, v10, 0
	s_add_i32 s4, s5, s4
	s_mul_i32 s5, s25, s14
	v_add3_u32 v3, v3, v12, v13
	s_add_i32 s5, s4, s5
	s_mul_i32 s4, s24, s14
	v_lshlrev_b64 v[0:1], 3, v[0:1]
	s_lshl_b64 s[4:5], s[4:5], 3
	v_lshlrev_b64 v[2:3], 3, v[2:3]
	s_add_u32 s4, s7, s4
	v_add3_u32 v8, v8, v11, v14
	s_addc_u32 s5, s8, s5
	v_add_co_u32 v10, vcc_lo, s4, v0
	v_add_co_ci_u32_e32 v11, vcc_lo, s5, v1, vcc_lo
	s_delay_alu instid0(VALU_DEP_3) | instskip(NEXT) | instid1(VALU_DEP_3)
	v_lshlrev_b64 v[0:1], 3, v[7:8]
	v_add_co_u32 v2, vcc_lo, v10, v2
	s_delay_alu instid0(VALU_DEP_3) | instskip(SKIP_1) | instid1(VALU_DEP_3)
	v_add_co_ci_u32_e32 v3, vcc_lo, v11, v3, vcc_lo
	v_ashrrev_i32_e32 v7, 31, v5
	v_add_co_u32 v0, vcc_lo, v2, v0
	s_delay_alu instid0(VALU_DEP_3)
	v_add_co_ci_u32_e32 v1, vcc_lo, v3, v1, vcc_lo
	v_ashrrev_i32_e32 v2, 31, v6
	global_load_b64 v[0:1], v[0:1], off
	s_clause 0x1
	s_load_b256 s[4:11], s[0:1], 0x88
	s_load_b64 s[0:1], s[0:1], 0x58
	s_waitcnt lgkmcnt(0)
	s_mul_i32 s12, s4, s12
	s_mul_hi_u32 s16, s4, s15
	v_mul_lo_u32 v8, s9, v6
	v_mul_lo_u32 v10, s8, v2
	v_mad_u64_u32 v[2:3], null, s8, v6, 0
	s_add_i32 s12, s16, s12
	s_mul_i32 s5, s5, s15
	s_mul_i32 s4, s4, s15
	s_add_i32 s5, s12, s5
	v_mul_lo_u32 v11, s11, v5
	v_mul_lo_u32 v12, s10, v7
	v_mad_u64_u32 v[6:7], null, s10, v5, 0
	s_lshl_b64 s[4:5], s[4:5], 3
	v_add3_u32 v3, v3, v10, v8
	s_add_u32 s4, s0, s4
	s_addc_u32 s5, s1, s5
	s_mul_i32 s0, s6, s13
	s_mul_hi_u32 s1, s6, s14
	v_mul_lo_u32 v8, s3, v9
	v_mul_lo_u32 v10, s2, v4
	v_mad_u64_u32 v[4:5], null, s2, v9, 0
	s_add_i32 s0, s1, s0
	s_mul_i32 s1, s7, s14
	v_add3_u32 v7, v7, v12, v11
	s_add_i32 s1, s0, s1
	s_mul_i32 s0, s6, s14
	v_lshlrev_b64 v[2:3], 3, v[2:3]
	s_lshl_b64 s[0:1], s[0:1], 3
	v_lshlrev_b64 v[6:7], 3, v[6:7]
	s_add_u32 s0, s4, s0
	v_add3_u32 v5, v5, v10, v8
	s_addc_u32 s1, s5, s1
	v_add_co_u32 v8, vcc_lo, s0, v2
	v_add_co_ci_u32_e32 v9, vcc_lo, s1, v3, vcc_lo
	s_delay_alu instid0(VALU_DEP_3) | instskip(NEXT) | instid1(VALU_DEP_3)
	v_lshlrev_b64 v[2:3], 3, v[4:5]
	v_add_co_u32 v4, vcc_lo, v8, v6
	s_delay_alu instid0(VALU_DEP_3) | instskip(NEXT) | instid1(VALU_DEP_2)
	v_add_co_ci_u32_e32 v5, vcc_lo, v9, v7, vcc_lo
	v_add_co_u32 v2, vcc_lo, v4, v2
	s_delay_alu instid0(VALU_DEP_2)
	v_add_co_ci_u32_e32 v3, vcc_lo, v5, v3, vcc_lo
	s_waitcnt vmcnt(0)
	global_store_b64 v[2:3], v[0:1], off
.LBB48_14:
	s_nop 0
	s_sendmsg sendmsg(MSG_DEALLOC_VGPRS)
	s_endpgm
	.section	.rodata,"a",@progbits
	.p2align	6, 0x0
	.amdhsa_kernel _ZN2at6native12_GLOBAL__N_132replication_pad_forward_kernel3dIN3c107complexIfEEEEvN5torch10headeronly6detail27GenericPackedTensorAccessorINS8_14TensorAccessorINS3_8ArrayRefIlEEKT_Lm4ENS7_16DefaultPtrTraitsElEENS_6detail16IndexBoundsCheckILm5ElEESE_Lm5ESF_lEENS9_INSA_ISC_SD_Lm4ESF_lEESJ_SD_Lm5ESF_lEEiiiii
		.amdhsa_group_segment_fixed_size 0
		.amdhsa_private_segment_fixed_size 0
		.amdhsa_kernarg_size 456
		.amdhsa_user_sgpr_count 13
		.amdhsa_user_sgpr_dispatch_ptr 0
		.amdhsa_user_sgpr_queue_ptr 0
		.amdhsa_user_sgpr_kernarg_segment_ptr 1
		.amdhsa_user_sgpr_dispatch_id 0
		.amdhsa_user_sgpr_private_segment_size 0
		.amdhsa_wavefront_size32 1
		.amdhsa_uses_dynamic_stack 0
		.amdhsa_enable_private_segment 0
		.amdhsa_system_sgpr_workgroup_id_x 1
		.amdhsa_system_sgpr_workgroup_id_y 1
		.amdhsa_system_sgpr_workgroup_id_z 1
		.amdhsa_system_sgpr_workgroup_info 0
		.amdhsa_system_vgpr_workitem_id 0
		.amdhsa_next_free_vgpr 17
		.amdhsa_next_free_sgpr 32
		.amdhsa_reserve_vcc 1
		.amdhsa_float_round_mode_32 0
		.amdhsa_float_round_mode_16_64 0
		.amdhsa_float_denorm_mode_32 3
		.amdhsa_float_denorm_mode_16_64 3
		.amdhsa_dx10_clamp 1
		.amdhsa_ieee_mode 1
		.amdhsa_fp16_overflow 0
		.amdhsa_workgroup_processor_mode 1
		.amdhsa_memory_ordered 1
		.amdhsa_forward_progress 0
		.amdhsa_shared_vgpr_count 0
		.amdhsa_exception_fp_ieee_invalid_op 0
		.amdhsa_exception_fp_denorm_src 0
		.amdhsa_exception_fp_ieee_div_zero 0
		.amdhsa_exception_fp_ieee_overflow 0
		.amdhsa_exception_fp_ieee_underflow 0
		.amdhsa_exception_fp_ieee_inexact 0
		.amdhsa_exception_int_div_zero 0
	.end_amdhsa_kernel
	.section	.text._ZN2at6native12_GLOBAL__N_132replication_pad_forward_kernel3dIN3c107complexIfEEEEvN5torch10headeronly6detail27GenericPackedTensorAccessorINS8_14TensorAccessorINS3_8ArrayRefIlEEKT_Lm4ENS7_16DefaultPtrTraitsElEENS_6detail16IndexBoundsCheckILm5ElEESE_Lm5ESF_lEENS9_INSA_ISC_SD_Lm4ESF_lEESJ_SD_Lm5ESF_lEEiiiii,"axG",@progbits,_ZN2at6native12_GLOBAL__N_132replication_pad_forward_kernel3dIN3c107complexIfEEEEvN5torch10headeronly6detail27GenericPackedTensorAccessorINS8_14TensorAccessorINS3_8ArrayRefIlEEKT_Lm4ENS7_16DefaultPtrTraitsElEENS_6detail16IndexBoundsCheckILm5ElEESE_Lm5ESF_lEENS9_INSA_ISC_SD_Lm4ESF_lEESJ_SD_Lm5ESF_lEEiiiii,comdat
.Lfunc_end48:
	.size	_ZN2at6native12_GLOBAL__N_132replication_pad_forward_kernel3dIN3c107complexIfEEEEvN5torch10headeronly6detail27GenericPackedTensorAccessorINS8_14TensorAccessorINS3_8ArrayRefIlEEKT_Lm4ENS7_16DefaultPtrTraitsElEENS_6detail16IndexBoundsCheckILm5ElEESE_Lm5ESF_lEENS9_INSA_ISC_SD_Lm4ESF_lEESJ_SD_Lm5ESF_lEEiiiii, .Lfunc_end48-_ZN2at6native12_GLOBAL__N_132replication_pad_forward_kernel3dIN3c107complexIfEEEEvN5torch10headeronly6detail27GenericPackedTensorAccessorINS8_14TensorAccessorINS3_8ArrayRefIlEEKT_Lm4ENS7_16DefaultPtrTraitsElEENS_6detail16IndexBoundsCheckILm5ElEESE_Lm5ESF_lEENS9_INSA_ISC_SD_Lm4ESF_lEESJ_SD_Lm5ESF_lEEiiiii
                                        ; -- End function
	.section	.AMDGPU.csdata,"",@progbits
; Kernel info:
; codeLenInByte = 3796
; NumSgprs: 34
; NumVgprs: 17
; ScratchSize: 0
; MemoryBound: 0
; FloatMode: 240
; IeeeMode: 1
; LDSByteSize: 0 bytes/workgroup (compile time only)
; SGPRBlocks: 4
; VGPRBlocks: 2
; NumSGPRsForWavesPerEU: 34
; NumVGPRsForWavesPerEU: 17
; Occupancy: 16
; WaveLimiterHint : 1
; COMPUTE_PGM_RSRC2:SCRATCH_EN: 0
; COMPUTE_PGM_RSRC2:USER_SGPR: 13
; COMPUTE_PGM_RSRC2:TRAP_HANDLER: 0
; COMPUTE_PGM_RSRC2:TGID_X_EN: 1
; COMPUTE_PGM_RSRC2:TGID_Y_EN: 1
; COMPUTE_PGM_RSRC2:TGID_Z_EN: 1
; COMPUTE_PGM_RSRC2:TIDIG_COMP_CNT: 0
	.section	.text._ZN2at6native12_GLOBAL__N_132replication_pad_forward_kernel3dIN3c104HalfEEEvN5torch10headeronly6detail27GenericPackedTensorAccessorINS7_14TensorAccessorINS3_8ArrayRefIlEEKT_Lm4ENS6_16DefaultPtrTraitsElEENS_6detail16IndexBoundsCheckILm5ElEESD_Lm5ESE_lEENS8_INS9_ISB_SC_Lm4ESE_lEESI_SC_Lm5ESE_lEEiiiii,"axG",@progbits,_ZN2at6native12_GLOBAL__N_132replication_pad_forward_kernel3dIN3c104HalfEEEvN5torch10headeronly6detail27GenericPackedTensorAccessorINS7_14TensorAccessorINS3_8ArrayRefIlEEKT_Lm4ENS6_16DefaultPtrTraitsElEENS_6detail16IndexBoundsCheckILm5ElEESD_Lm5ESE_lEENS8_INS9_ISB_SC_Lm4ESE_lEESI_SC_Lm5ESE_lEEiiiii,comdat
	.globl	_ZN2at6native12_GLOBAL__N_132replication_pad_forward_kernel3dIN3c104HalfEEEvN5torch10headeronly6detail27GenericPackedTensorAccessorINS7_14TensorAccessorINS3_8ArrayRefIlEEKT_Lm4ENS6_16DefaultPtrTraitsElEENS_6detail16IndexBoundsCheckILm5ElEESD_Lm5ESE_lEENS8_INS9_ISB_SC_Lm4ESE_lEESI_SC_Lm5ESE_lEEiiiii ; -- Begin function _ZN2at6native12_GLOBAL__N_132replication_pad_forward_kernel3dIN3c104HalfEEEvN5torch10headeronly6detail27GenericPackedTensorAccessorINS7_14TensorAccessorINS3_8ArrayRefIlEEKT_Lm4ENS6_16DefaultPtrTraitsElEENS_6detail16IndexBoundsCheckILm5ElEESD_Lm5ESE_lEENS8_INS9_ISB_SC_Lm4ESE_lEESI_SC_Lm5ESE_lEEiiiii
	.p2align	8
	.type	_ZN2at6native12_GLOBAL__N_132replication_pad_forward_kernel3dIN3c104HalfEEEvN5torch10headeronly6detail27GenericPackedTensorAccessorINS7_14TensorAccessorINS3_8ArrayRefIlEEKT_Lm4ENS6_16DefaultPtrTraitsElEENS_6detail16IndexBoundsCheckILm5ElEESD_Lm5ESE_lEENS8_INS9_ISB_SC_Lm4ESE_lEESI_SC_Lm5ESE_lEEiiiii,@function
_ZN2at6native12_GLOBAL__N_132replication_pad_forward_kernel3dIN3c104HalfEEEvN5torch10headeronly6detail27GenericPackedTensorAccessorINS7_14TensorAccessorINS3_8ArrayRefIlEEKT_Lm4ENS6_16DefaultPtrTraitsElEENS_6detail16IndexBoundsCheckILm5ElEESD_Lm5ESE_lEENS8_INS9_ISB_SC_Lm4ESE_lEESI_SC_Lm5ESE_lEEiiiii: ; @_ZN2at6native12_GLOBAL__N_132replication_pad_forward_kernel3dIN3c104HalfEEEvN5torch10headeronly6detail27GenericPackedTensorAccessorINS7_14TensorAccessorINS3_8ArrayRefIlEEKT_Lm4ENS6_16DefaultPtrTraitsElEENS_6detail16IndexBoundsCheckILm5ElEESD_Lm5ESE_lEENS8_INS9_ISB_SC_Lm4ESE_lEESI_SC_Lm5ESE_lEEiiiii
; %bb.0:
	s_clause 0x2
	s_load_b32 s2, s[0:1], 0xd4
	s_load_b128 s[4:7], s[0:1], 0x70
	s_load_b64 s[8:9], s[0:1], 0x80
	s_waitcnt lgkmcnt(0)
	s_and_b32 s2, s2, 0xffff
	s_delay_alu instid0(SALU_CYCLE_1)
	v_mad_u64_u32 v[1:2], null, s13, s2, v[0:1]
	s_mul_i32 s10, s8, s7
	s_mul_hi_u32 s11, s8, s6
	s_mul_i32 s2, s9, s6
	s_mul_i32 s3, s8, s6
	s_add_i32 s12, s11, s10
	s_mul_i32 s5, s3, s5
	s_mul_hi_u32 s10, s3, s4
	s_add_i32 s12, s12, s2
	v_ashrrev_i32_e32 v2, 31, v1
	s_add_i32 s2, s10, s5
	s_mul_i32 s5, s12, s4
	s_mul_i32 s4, s3, s4
	s_add_i32 s5, s2, s5
	s_mov_b32 s2, exec_lo
	v_cmpx_gt_i64_e64 s[4:5], v[1:2]
	s_cbranch_execz .LBB49_14
; %bb.1:
	v_or_b32_e32 v4, s9, v2
	v_mov_b32_e32 v3, 0
	s_delay_alu instid0(VALU_DEP_1) | instskip(SKIP_1) | instid1(SALU_CYCLE_1)
	v_cmp_ne_u64_e32 vcc_lo, 0, v[3:4]
                                        ; implicit-def: $vgpr3_vgpr4
	s_and_saveexec_b32 s2, vcc_lo
	s_xor_b32 s13, exec_lo, s2
	s_cbranch_execz .LBB49_3
; %bb.2:
	s_ashr_i32 s4, s9, 31
	s_delay_alu instid0(SALU_CYCLE_1) | instskip(SKIP_2) | instid1(SALU_CYCLE_1)
	s_add_u32 s10, s8, s4
	s_mov_b32 s5, s4
	s_addc_u32 s11, s9, s4
	s_xor_b64 s[10:11], s[10:11], s[4:5]
	s_delay_alu instid0(SALU_CYCLE_1) | instskip(SKIP_3) | instid1(VALU_DEP_1)
	v_cvt_f32_u32_e32 v0, s10
	v_cvt_f32_u32_e32 v3, s11
	s_sub_u32 s2, 0, s10
	s_subb_u32 s5, 0, s11
	v_fmamk_f32 v0, v3, 0x4f800000, v0
	s_delay_alu instid0(VALU_DEP_1) | instskip(SKIP_2) | instid1(VALU_DEP_1)
	v_rcp_f32_e32 v0, v0
	s_waitcnt_depctr 0xfff
	v_mul_f32_e32 v0, 0x5f7ffffc, v0
	v_mul_f32_e32 v3, 0x2f800000, v0
	s_delay_alu instid0(VALU_DEP_1) | instskip(NEXT) | instid1(VALU_DEP_1)
	v_trunc_f32_e32 v3, v3
	v_fmamk_f32 v0, v3, 0xcf800000, v0
	v_cvt_u32_f32_e32 v3, v3
	s_delay_alu instid0(VALU_DEP_2) | instskip(NEXT) | instid1(VALU_DEP_2)
	v_cvt_u32_f32_e32 v0, v0
	v_mul_lo_u32 v4, s2, v3
	s_delay_alu instid0(VALU_DEP_2) | instskip(SKIP_1) | instid1(VALU_DEP_2)
	v_mul_hi_u32 v5, s2, v0
	v_mul_lo_u32 v6, s5, v0
	v_add_nc_u32_e32 v4, v5, v4
	v_mul_lo_u32 v5, s2, v0
	s_delay_alu instid0(VALU_DEP_2) | instskip(NEXT) | instid1(VALU_DEP_2)
	v_add_nc_u32_e32 v4, v4, v6
	v_mul_hi_u32 v6, v0, v5
	s_delay_alu instid0(VALU_DEP_2)
	v_mul_lo_u32 v7, v0, v4
	v_mul_hi_u32 v8, v0, v4
	v_mul_hi_u32 v9, v3, v5
	v_mul_lo_u32 v5, v3, v5
	v_mul_hi_u32 v10, v3, v4
	v_mul_lo_u32 v4, v3, v4
	v_add_co_u32 v6, vcc_lo, v6, v7
	v_add_co_ci_u32_e32 v7, vcc_lo, 0, v8, vcc_lo
	s_delay_alu instid0(VALU_DEP_2) | instskip(NEXT) | instid1(VALU_DEP_2)
	v_add_co_u32 v5, vcc_lo, v6, v5
	v_add_co_ci_u32_e32 v5, vcc_lo, v7, v9, vcc_lo
	v_add_co_ci_u32_e32 v6, vcc_lo, 0, v10, vcc_lo
	v_ashrrev_i32_e32 v9, 31, v2
	s_delay_alu instid0(VALU_DEP_3) | instskip(NEXT) | instid1(VALU_DEP_3)
	v_add_co_u32 v4, vcc_lo, v5, v4
	v_add_co_ci_u32_e32 v5, vcc_lo, 0, v6, vcc_lo
	s_delay_alu instid0(VALU_DEP_2) | instskip(NEXT) | instid1(VALU_DEP_2)
	v_add_co_u32 v0, vcc_lo, v0, v4
	v_add_co_ci_u32_e32 v3, vcc_lo, v3, v5, vcc_lo
	s_delay_alu instid0(VALU_DEP_2) | instskip(SKIP_1) | instid1(VALU_DEP_3)
	v_mul_hi_u32 v4, s2, v0
	v_mul_lo_u32 v6, s5, v0
	v_mul_lo_u32 v5, s2, v3
	s_delay_alu instid0(VALU_DEP_1) | instskip(SKIP_1) | instid1(VALU_DEP_2)
	v_add_nc_u32_e32 v4, v4, v5
	v_mul_lo_u32 v5, s2, v0
	v_add_nc_u32_e32 v4, v4, v6
	s_delay_alu instid0(VALU_DEP_2) | instskip(NEXT) | instid1(VALU_DEP_2)
	v_mul_hi_u32 v6, v0, v5
	v_mul_lo_u32 v7, v0, v4
	v_mul_hi_u32 v8, v0, v4
	v_mul_hi_u32 v10, v3, v5
	v_mul_lo_u32 v5, v3, v5
	v_mul_hi_u32 v11, v3, v4
	v_mul_lo_u32 v4, v3, v4
	v_add_co_u32 v6, vcc_lo, v6, v7
	v_add_co_ci_u32_e32 v7, vcc_lo, 0, v8, vcc_lo
	s_delay_alu instid0(VALU_DEP_2) | instskip(NEXT) | instid1(VALU_DEP_2)
	v_add_co_u32 v5, vcc_lo, v6, v5
	v_add_co_ci_u32_e32 v5, vcc_lo, v7, v10, vcc_lo
	v_add_co_ci_u32_e32 v6, vcc_lo, 0, v11, vcc_lo
	v_add_co_u32 v7, vcc_lo, v1, v9
	v_add_co_ci_u32_e32 v8, vcc_lo, v2, v9, vcc_lo
	s_delay_alu instid0(VALU_DEP_4) | instskip(NEXT) | instid1(VALU_DEP_4)
	v_add_co_u32 v4, vcc_lo, v5, v4
	v_add_co_ci_u32_e32 v5, vcc_lo, 0, v6, vcc_lo
	s_delay_alu instid0(VALU_DEP_4) | instskip(NEXT) | instid1(VALU_DEP_3)
	v_xor_b32_e32 v10, v7, v9
	v_add_co_u32 v0, vcc_lo, v0, v4
	s_delay_alu instid0(VALU_DEP_3) | instskip(SKIP_1) | instid1(VALU_DEP_3)
	v_add_co_ci_u32_e32 v11, vcc_lo, v3, v5, vcc_lo
	v_xor_b32_e32 v12, v8, v9
	v_mul_hi_u32 v13, v10, v0
	s_delay_alu instid0(VALU_DEP_3) | instskip(NEXT) | instid1(VALU_DEP_3)
	v_mad_u64_u32 v[3:4], null, v10, v11, 0
	v_mad_u64_u32 v[5:6], null, v12, v0, 0
	;; [unrolled: 1-line block ×3, first 2 shown]
	s_delay_alu instid0(VALU_DEP_3) | instskip(NEXT) | instid1(VALU_DEP_4)
	v_add_co_u32 v0, vcc_lo, v13, v3
	v_add_co_ci_u32_e32 v3, vcc_lo, 0, v4, vcc_lo
	s_delay_alu instid0(VALU_DEP_2) | instskip(NEXT) | instid1(VALU_DEP_2)
	v_add_co_u32 v0, vcc_lo, v0, v5
	v_add_co_ci_u32_e32 v0, vcc_lo, v3, v6, vcc_lo
	v_add_co_ci_u32_e32 v3, vcc_lo, 0, v8, vcc_lo
	s_delay_alu instid0(VALU_DEP_2) | instskip(NEXT) | instid1(VALU_DEP_2)
	v_add_co_u32 v0, vcc_lo, v0, v7
	v_add_co_ci_u32_e32 v5, vcc_lo, 0, v3, vcc_lo
	s_delay_alu instid0(VALU_DEP_2) | instskip(SKIP_1) | instid1(VALU_DEP_3)
	v_mul_lo_u32 v6, s11, v0
	v_mad_u64_u32 v[3:4], null, s10, v0, 0
	v_mul_lo_u32 v7, s10, v5
	s_delay_alu instid0(VALU_DEP_2) | instskip(NEXT) | instid1(VALU_DEP_2)
	v_sub_co_u32 v3, vcc_lo, v10, v3
	v_add3_u32 v4, v4, v7, v6
	s_delay_alu instid0(VALU_DEP_1) | instskip(NEXT) | instid1(VALU_DEP_1)
	v_sub_nc_u32_e32 v6, v12, v4
	v_subrev_co_ci_u32_e64 v6, s2, s11, v6, vcc_lo
	v_add_co_u32 v7, s2, v0, 2
	s_delay_alu instid0(VALU_DEP_1) | instskip(SKIP_3) | instid1(VALU_DEP_3)
	v_add_co_ci_u32_e64 v8, s2, 0, v5, s2
	v_sub_co_u32 v10, s2, v3, s10
	v_sub_co_ci_u32_e32 v4, vcc_lo, v12, v4, vcc_lo
	v_subrev_co_ci_u32_e64 v6, s2, 0, v6, s2
	v_cmp_le_u32_e32 vcc_lo, s10, v10
	s_delay_alu instid0(VALU_DEP_3) | instskip(SKIP_1) | instid1(VALU_DEP_4)
	v_cmp_eq_u32_e64 s2, s11, v4
	v_cndmask_b32_e64 v10, 0, -1, vcc_lo
	v_cmp_le_u32_e32 vcc_lo, s11, v6
	v_cndmask_b32_e64 v11, 0, -1, vcc_lo
	v_cmp_le_u32_e32 vcc_lo, s10, v3
	;; [unrolled: 2-line block ×3, first 2 shown]
	v_cndmask_b32_e64 v12, 0, -1, vcc_lo
	v_cmp_eq_u32_e32 vcc_lo, s11, v6
	s_delay_alu instid0(VALU_DEP_2) | instskip(SKIP_3) | instid1(VALU_DEP_3)
	v_cndmask_b32_e64 v3, v12, v3, s2
	v_cndmask_b32_e32 v6, v11, v10, vcc_lo
	v_add_co_u32 v10, vcc_lo, v0, 1
	v_add_co_ci_u32_e32 v11, vcc_lo, 0, v5, vcc_lo
	v_cmp_ne_u32_e32 vcc_lo, 0, v6
	s_delay_alu instid0(VALU_DEP_2) | instskip(NEXT) | instid1(VALU_DEP_4)
	v_cndmask_b32_e32 v4, v11, v8, vcc_lo
	v_cndmask_b32_e32 v6, v10, v7, vcc_lo
	v_cmp_ne_u32_e32 vcc_lo, 0, v3
	v_xor_b32_e32 v7, s4, v9
	s_delay_alu instid0(VALU_DEP_3) | instskip(NEXT) | instid1(VALU_DEP_1)
	v_dual_cndmask_b32 v0, v0, v6 :: v_dual_cndmask_b32 v3, v5, v4
	v_xor_b32_e32 v0, v0, v7
	s_delay_alu instid0(VALU_DEP_2) | instskip(NEXT) | instid1(VALU_DEP_2)
	v_xor_b32_e32 v4, v3, v7
	v_sub_co_u32 v3, vcc_lo, v0, v7
	s_delay_alu instid0(VALU_DEP_2)
	v_sub_co_ci_u32_e32 v4, vcc_lo, v4, v7, vcc_lo
.LBB49_3:
	s_and_not1_saveexec_b32 s2, s13
	s_cbranch_execz .LBB49_5
; %bb.4:
	v_cvt_f32_u32_e32 v0, s8
	s_sub_i32 s4, 0, s8
	s_delay_alu instid0(VALU_DEP_1) | instskip(SKIP_2) | instid1(VALU_DEP_1)
	v_rcp_iflag_f32_e32 v0, v0
	s_waitcnt_depctr 0xfff
	v_mul_f32_e32 v0, 0x4f7ffffe, v0
	v_cvt_u32_f32_e32 v0, v0
	s_delay_alu instid0(VALU_DEP_1) | instskip(NEXT) | instid1(VALU_DEP_1)
	v_mul_lo_u32 v3, s4, v0
	v_mul_hi_u32 v3, v0, v3
	s_delay_alu instid0(VALU_DEP_1) | instskip(NEXT) | instid1(VALU_DEP_1)
	v_add_nc_u32_e32 v0, v0, v3
	v_mul_hi_u32 v0, v1, v0
	s_delay_alu instid0(VALU_DEP_1) | instskip(SKIP_1) | instid1(VALU_DEP_2)
	v_mul_lo_u32 v3, v0, s8
	v_add_nc_u32_e32 v4, 1, v0
	v_sub_nc_u32_e32 v3, v1, v3
	s_delay_alu instid0(VALU_DEP_1) | instskip(SKIP_1) | instid1(VALU_DEP_2)
	v_subrev_nc_u32_e32 v5, s8, v3
	v_cmp_le_u32_e32 vcc_lo, s8, v3
	v_dual_cndmask_b32 v3, v3, v5 :: v_dual_cndmask_b32 v0, v0, v4
	s_delay_alu instid0(VALU_DEP_1) | instskip(NEXT) | instid1(VALU_DEP_2)
	v_cmp_le_u32_e32 vcc_lo, s8, v3
	v_add_nc_u32_e32 v4, 1, v0
	s_delay_alu instid0(VALU_DEP_1)
	v_dual_cndmask_b32 v3, v0, v4 :: v_dual_mov_b32 v4, 0
.LBB49_5:
	s_or_b32 exec_lo, exec_lo, s2
	s_delay_alu instid0(VALU_DEP_1) | instskip(SKIP_1) | instid1(VALU_DEP_1)
	v_or_b32_e32 v6, s7, v4
	v_mov_b32_e32 v5, 0
	v_cmp_ne_u64_e32 vcc_lo, 0, v[5:6]
                                        ; implicit-def: $vgpr5_vgpr6
	s_and_saveexec_b32 s2, vcc_lo
	s_delay_alu instid0(SALU_CYCLE_1)
	s_xor_b32 s10, exec_lo, s2
	s_cbranch_execz .LBB49_7
; %bb.6:
	s_ashr_i32 s4, s7, 31
	s_delay_alu instid0(SALU_CYCLE_1) | instskip(SKIP_2) | instid1(SALU_CYCLE_1)
	s_add_u32 s16, s6, s4
	s_mov_b32 s5, s4
	s_addc_u32 s17, s7, s4
	s_xor_b64 s[4:5], s[16:17], s[4:5]
	s_delay_alu instid0(SALU_CYCLE_1) | instskip(SKIP_3) | instid1(VALU_DEP_1)
	v_cvt_f32_u32_e32 v0, s4
	v_cvt_f32_u32_e32 v5, s5
	s_sub_u32 s2, 0, s4
	s_subb_u32 s7, 0, s5
	v_fmamk_f32 v0, v5, 0x4f800000, v0
	s_delay_alu instid0(VALU_DEP_1) | instskip(SKIP_2) | instid1(VALU_DEP_1)
	v_rcp_f32_e32 v0, v0
	s_waitcnt_depctr 0xfff
	v_mul_f32_e32 v0, 0x5f7ffffc, v0
	v_mul_f32_e32 v5, 0x2f800000, v0
	s_delay_alu instid0(VALU_DEP_1) | instskip(NEXT) | instid1(VALU_DEP_1)
	v_trunc_f32_e32 v5, v5
	v_fmamk_f32 v0, v5, 0xcf800000, v0
	v_cvt_u32_f32_e32 v5, v5
	s_delay_alu instid0(VALU_DEP_2) | instskip(NEXT) | instid1(VALU_DEP_2)
	v_cvt_u32_f32_e32 v0, v0
	v_mul_lo_u32 v6, s2, v5
	s_delay_alu instid0(VALU_DEP_2) | instskip(SKIP_1) | instid1(VALU_DEP_2)
	v_mul_hi_u32 v7, s2, v0
	v_mul_lo_u32 v8, s7, v0
	v_add_nc_u32_e32 v6, v7, v6
	v_mul_lo_u32 v7, s2, v0
	s_delay_alu instid0(VALU_DEP_2) | instskip(NEXT) | instid1(VALU_DEP_2)
	v_add_nc_u32_e32 v6, v6, v8
	v_mul_hi_u32 v8, v0, v7
	s_delay_alu instid0(VALU_DEP_2)
	v_mul_lo_u32 v9, v0, v6
	v_mul_hi_u32 v10, v0, v6
	v_mul_hi_u32 v11, v5, v7
	v_mul_lo_u32 v7, v5, v7
	v_mul_hi_u32 v12, v5, v6
	v_mul_lo_u32 v6, v5, v6
	v_add_co_u32 v8, vcc_lo, v8, v9
	v_add_co_ci_u32_e32 v9, vcc_lo, 0, v10, vcc_lo
	s_delay_alu instid0(VALU_DEP_2) | instskip(NEXT) | instid1(VALU_DEP_2)
	v_add_co_u32 v7, vcc_lo, v8, v7
	v_add_co_ci_u32_e32 v7, vcc_lo, v9, v11, vcc_lo
	v_add_co_ci_u32_e32 v8, vcc_lo, 0, v12, vcc_lo
	v_ashrrev_i32_e32 v11, 31, v4
	s_delay_alu instid0(VALU_DEP_3) | instskip(NEXT) | instid1(VALU_DEP_3)
	v_add_co_u32 v6, vcc_lo, v7, v6
	v_add_co_ci_u32_e32 v7, vcc_lo, 0, v8, vcc_lo
	s_delay_alu instid0(VALU_DEP_2) | instskip(NEXT) | instid1(VALU_DEP_2)
	v_add_co_u32 v0, vcc_lo, v0, v6
	v_add_co_ci_u32_e32 v5, vcc_lo, v5, v7, vcc_lo
	s_delay_alu instid0(VALU_DEP_2) | instskip(SKIP_1) | instid1(VALU_DEP_3)
	v_mul_hi_u32 v6, s2, v0
	v_mul_lo_u32 v8, s7, v0
	v_mul_lo_u32 v7, s2, v5
	s_delay_alu instid0(VALU_DEP_1) | instskip(SKIP_1) | instid1(VALU_DEP_2)
	v_add_nc_u32_e32 v6, v6, v7
	v_mul_lo_u32 v7, s2, v0
	v_add_nc_u32_e32 v6, v6, v8
	s_delay_alu instid0(VALU_DEP_2) | instskip(NEXT) | instid1(VALU_DEP_2)
	v_mul_hi_u32 v8, v0, v7
	v_mul_lo_u32 v9, v0, v6
	v_mul_hi_u32 v10, v0, v6
	v_mul_hi_u32 v12, v5, v7
	v_mul_lo_u32 v7, v5, v7
	v_mul_hi_u32 v13, v5, v6
	v_mul_lo_u32 v6, v5, v6
	v_add_co_u32 v8, vcc_lo, v8, v9
	v_add_co_ci_u32_e32 v9, vcc_lo, 0, v10, vcc_lo
	s_delay_alu instid0(VALU_DEP_2) | instskip(NEXT) | instid1(VALU_DEP_2)
	v_add_co_u32 v7, vcc_lo, v8, v7
	v_add_co_ci_u32_e32 v7, vcc_lo, v9, v12, vcc_lo
	v_add_co_ci_u32_e32 v8, vcc_lo, 0, v13, vcc_lo
	v_add_co_u32 v9, vcc_lo, v3, v11
	v_add_co_ci_u32_e32 v10, vcc_lo, v4, v11, vcc_lo
	s_delay_alu instid0(VALU_DEP_4) | instskip(NEXT) | instid1(VALU_DEP_4)
	v_add_co_u32 v6, vcc_lo, v7, v6
	v_add_co_ci_u32_e32 v7, vcc_lo, 0, v8, vcc_lo
	s_delay_alu instid0(VALU_DEP_4) | instskip(NEXT) | instid1(VALU_DEP_3)
	v_xor_b32_e32 v12, v9, v11
	v_add_co_u32 v0, vcc_lo, v0, v6
	s_delay_alu instid0(VALU_DEP_3) | instskip(SKIP_1) | instid1(VALU_DEP_3)
	v_add_co_ci_u32_e32 v13, vcc_lo, v5, v7, vcc_lo
	v_xor_b32_e32 v14, v10, v11
	v_mul_hi_u32 v15, v12, v0
	s_delay_alu instid0(VALU_DEP_3) | instskip(NEXT) | instid1(VALU_DEP_3)
	v_mad_u64_u32 v[5:6], null, v12, v13, 0
	v_mad_u64_u32 v[7:8], null, v14, v0, 0
	;; [unrolled: 1-line block ×3, first 2 shown]
	s_delay_alu instid0(VALU_DEP_3) | instskip(NEXT) | instid1(VALU_DEP_4)
	v_add_co_u32 v0, vcc_lo, v15, v5
	v_add_co_ci_u32_e32 v5, vcc_lo, 0, v6, vcc_lo
	s_delay_alu instid0(VALU_DEP_2) | instskip(NEXT) | instid1(VALU_DEP_2)
	v_add_co_u32 v0, vcc_lo, v0, v7
	v_add_co_ci_u32_e32 v0, vcc_lo, v5, v8, vcc_lo
	v_add_co_ci_u32_e32 v5, vcc_lo, 0, v10, vcc_lo
	s_delay_alu instid0(VALU_DEP_2) | instskip(NEXT) | instid1(VALU_DEP_2)
	v_add_co_u32 v0, vcc_lo, v0, v9
	v_add_co_ci_u32_e32 v7, vcc_lo, 0, v5, vcc_lo
	s_delay_alu instid0(VALU_DEP_2) | instskip(SKIP_1) | instid1(VALU_DEP_3)
	v_mul_lo_u32 v8, s5, v0
	v_mad_u64_u32 v[5:6], null, s4, v0, 0
	v_mul_lo_u32 v0, s4, v7
	s_delay_alu instid0(VALU_DEP_2) | instskip(NEXT) | instid1(VALU_DEP_2)
	v_sub_co_u32 v5, vcc_lo, v12, v5
	v_add3_u32 v0, v6, v0, v8
	s_delay_alu instid0(VALU_DEP_1) | instskip(NEXT) | instid1(VALU_DEP_1)
	v_sub_nc_u32_e32 v6, v14, v0
	v_subrev_co_ci_u32_e64 v6, s2, s5, v6, vcc_lo
	s_delay_alu instid0(VALU_DEP_4) | instskip(SKIP_1) | instid1(VALU_DEP_3)
	v_sub_co_u32 v7, s2, v5, s4
	v_sub_co_ci_u32_e32 v0, vcc_lo, v14, v0, vcc_lo
	v_subrev_co_ci_u32_e64 v6, s2, 0, v6, s2
	s_delay_alu instid0(VALU_DEP_3) | instskip(SKIP_1) | instid1(VALU_DEP_3)
	v_cmp_le_u32_e32 vcc_lo, s4, v7
	v_cndmask_b32_e64 v8, 0, -1, vcc_lo
	v_cmp_le_u32_e32 vcc_lo, s5, v6
	v_cndmask_b32_e64 v9, 0, -1, vcc_lo
	;; [unrolled: 2-line block ×4, first 2 shown]
	v_cmp_eq_u32_e32 vcc_lo, s5, v6
	v_cndmask_b32_e32 v6, v9, v8, vcc_lo
	v_sub_co_u32 v8, vcc_lo, v7, s4
	v_cmp_eq_u32_e32 vcc_lo, s5, v0
	v_cndmask_b32_e32 v0, v12, v10, vcc_lo
	s_delay_alu instid0(VALU_DEP_4) | instskip(NEXT) | instid1(VALU_DEP_4)
	v_cmp_ne_u32_e32 vcc_lo, 0, v6
	v_cndmask_b32_e32 v6, v7, v8, vcc_lo
	s_delay_alu instid0(VALU_DEP_3) | instskip(NEXT) | instid1(VALU_DEP_2)
	v_cmp_ne_u32_e32 vcc_lo, 0, v0
	v_cndmask_b32_e32 v0, v5, v6, vcc_lo
	s_delay_alu instid0(VALU_DEP_1) | instskip(NEXT) | instid1(VALU_DEP_1)
	v_xor_b32_e32 v0, v0, v11
	v_sub_co_u32 v5, vcc_lo, v0, v11
.LBB49_7:
	s_and_not1_saveexec_b32 s2, s10
	s_cbranch_execz .LBB49_9
; %bb.8:
	v_cvt_f32_u32_e32 v0, s6
	s_sub_i32 s4, 0, s6
	s_delay_alu instid0(VALU_DEP_1) | instskip(SKIP_2) | instid1(VALU_DEP_1)
	v_rcp_iflag_f32_e32 v0, v0
	s_waitcnt_depctr 0xfff
	v_mul_f32_e32 v0, 0x4f7ffffe, v0
	v_cvt_u32_f32_e32 v0, v0
	s_delay_alu instid0(VALU_DEP_1) | instskip(NEXT) | instid1(VALU_DEP_1)
	v_mul_lo_u32 v5, s4, v0
	v_mul_hi_u32 v5, v0, v5
	s_delay_alu instid0(VALU_DEP_1) | instskip(NEXT) | instid1(VALU_DEP_1)
	v_add_nc_u32_e32 v0, v0, v5
	v_mul_hi_u32 v0, v3, v0
	s_delay_alu instid0(VALU_DEP_1) | instskip(NEXT) | instid1(VALU_DEP_1)
	v_mul_lo_u32 v0, v0, s6
	v_sub_nc_u32_e32 v0, v3, v0
	s_delay_alu instid0(VALU_DEP_1) | instskip(SKIP_1) | instid1(VALU_DEP_2)
	v_subrev_nc_u32_e32 v5, s6, v0
	v_cmp_le_u32_e32 vcc_lo, s6, v0
	v_cndmask_b32_e32 v0, v0, v5, vcc_lo
	s_delay_alu instid0(VALU_DEP_1) | instskip(SKIP_1) | instid1(VALU_DEP_2)
	v_subrev_nc_u32_e32 v5, s6, v0
	v_cmp_le_u32_e32 vcc_lo, s6, v0
	v_cndmask_b32_e32 v5, v0, v5, vcc_lo
.LBB49_9:
	s_or_b32 exec_lo, exec_lo, s2
	v_or_b32_e32 v7, s12, v2
	v_mov_b32_e32 v6, 0
	s_delay_alu instid0(VALU_DEP_1) | instskip(SKIP_1) | instid1(SALU_CYCLE_1)
	v_cmp_ne_u64_e32 vcc_lo, 0, v[6:7]
                                        ; implicit-def: $vgpr6_vgpr7
	s_and_saveexec_b32 s2, vcc_lo
	s_xor_b32 s10, exec_lo, s2
	s_cbranch_execz .LBB49_11
; %bb.10:
	s_ashr_i32 s4, s12, 31
	s_delay_alu instid0(SALU_CYCLE_1) | instskip(SKIP_2) | instid1(SALU_CYCLE_1)
	s_add_u32 s6, s3, s4
	s_mov_b32 s5, s4
	s_addc_u32 s7, s12, s4
	s_xor_b64 s[6:7], s[6:7], s[4:5]
	s_delay_alu instid0(SALU_CYCLE_1) | instskip(SKIP_3) | instid1(VALU_DEP_1)
	v_cvt_f32_u32_e32 v0, s6
	v_cvt_f32_u32_e32 v6, s7
	s_sub_u32 s2, 0, s6
	s_subb_u32 s5, 0, s7
	v_fmamk_f32 v0, v6, 0x4f800000, v0
	s_delay_alu instid0(VALU_DEP_1) | instskip(SKIP_2) | instid1(VALU_DEP_1)
	v_rcp_f32_e32 v0, v0
	s_waitcnt_depctr 0xfff
	v_mul_f32_e32 v0, 0x5f7ffffc, v0
	v_mul_f32_e32 v6, 0x2f800000, v0
	s_delay_alu instid0(VALU_DEP_1) | instskip(NEXT) | instid1(VALU_DEP_1)
	v_trunc_f32_e32 v6, v6
	v_fmamk_f32 v0, v6, 0xcf800000, v0
	v_cvt_u32_f32_e32 v6, v6
	s_delay_alu instid0(VALU_DEP_2) | instskip(NEXT) | instid1(VALU_DEP_2)
	v_cvt_u32_f32_e32 v0, v0
	v_mul_lo_u32 v7, s2, v6
	s_delay_alu instid0(VALU_DEP_2) | instskip(SKIP_1) | instid1(VALU_DEP_2)
	v_mul_hi_u32 v8, s2, v0
	v_mul_lo_u32 v9, s5, v0
	v_add_nc_u32_e32 v7, v8, v7
	v_mul_lo_u32 v8, s2, v0
	s_delay_alu instid0(VALU_DEP_2) | instskip(NEXT) | instid1(VALU_DEP_2)
	v_add_nc_u32_e32 v7, v7, v9
	v_mul_hi_u32 v9, v0, v8
	s_delay_alu instid0(VALU_DEP_2)
	v_mul_lo_u32 v10, v0, v7
	v_mul_hi_u32 v11, v0, v7
	v_mul_hi_u32 v12, v6, v8
	v_mul_lo_u32 v8, v6, v8
	v_mul_hi_u32 v13, v6, v7
	v_mul_lo_u32 v7, v6, v7
	v_add_co_u32 v9, vcc_lo, v9, v10
	v_add_co_ci_u32_e32 v10, vcc_lo, 0, v11, vcc_lo
	s_delay_alu instid0(VALU_DEP_2) | instskip(NEXT) | instid1(VALU_DEP_2)
	v_add_co_u32 v8, vcc_lo, v9, v8
	v_add_co_ci_u32_e32 v8, vcc_lo, v10, v12, vcc_lo
	v_add_co_ci_u32_e32 v9, vcc_lo, 0, v13, vcc_lo
	v_mov_b32_e32 v12, v2
	s_delay_alu instid0(VALU_DEP_3) | instskip(NEXT) | instid1(VALU_DEP_3)
	v_add_co_u32 v7, vcc_lo, v8, v7
	v_add_co_ci_u32_e32 v8, vcc_lo, 0, v9, vcc_lo
	v_mov_b32_e32 v13, v2
	s_delay_alu instid0(VALU_DEP_3) | instskip(NEXT) | instid1(VALU_DEP_3)
	v_add_co_u32 v0, vcc_lo, v0, v7
	v_add_co_ci_u32_e32 v6, vcc_lo, v6, v8, vcc_lo
	s_delay_alu instid0(VALU_DEP_2) | instskip(SKIP_1) | instid1(VALU_DEP_3)
	v_mul_hi_u32 v7, s2, v0
	v_mul_lo_u32 v9, s5, v0
	v_mul_lo_u32 v8, s2, v6
	s_delay_alu instid0(VALU_DEP_1) | instskip(SKIP_1) | instid1(VALU_DEP_2)
	v_add_nc_u32_e32 v7, v7, v8
	v_mul_lo_u32 v8, s2, v0
	v_add_nc_u32_e32 v7, v7, v9
	s_delay_alu instid0(VALU_DEP_2) | instskip(NEXT) | instid1(VALU_DEP_2)
	v_mul_hi_u32 v9, v0, v8
	v_mul_lo_u32 v10, v0, v7
	v_mul_hi_u32 v11, v0, v7
	v_mul_hi_u32 v14, v6, v8
	v_mul_lo_u32 v8, v6, v8
	v_mul_hi_u32 v15, v6, v7
	v_mul_lo_u32 v7, v6, v7
	v_add_co_u32 v9, vcc_lo, v9, v10
	v_add_co_ci_u32_e32 v10, vcc_lo, 0, v11, vcc_lo
	s_delay_alu instid0(VALU_DEP_2) | instskip(NEXT) | instid1(VALU_DEP_2)
	v_add_co_u32 v8, vcc_lo, v9, v8
	v_add_co_ci_u32_e32 v8, vcc_lo, v10, v14, vcc_lo
	v_add_co_ci_u32_e32 v9, vcc_lo, 0, v15, vcc_lo
	v_add_co_u32 v10, vcc_lo, v1, v12
	v_add_co_ci_u32_e32 v11, vcc_lo, v2, v13, vcc_lo
	s_delay_alu instid0(VALU_DEP_4) | instskip(NEXT) | instid1(VALU_DEP_4)
	v_add_co_u32 v7, vcc_lo, v8, v7
	v_add_co_ci_u32_e32 v8, vcc_lo, 0, v9, vcc_lo
	s_delay_alu instid0(VALU_DEP_4) | instskip(NEXT) | instid1(VALU_DEP_3)
	v_xor_b32_e32 v14, v10, v12
	v_add_co_u32 v0, vcc_lo, v0, v7
	s_delay_alu instid0(VALU_DEP_3) | instskip(SKIP_1) | instid1(VALU_DEP_3)
	v_add_co_ci_u32_e32 v15, vcc_lo, v6, v8, vcc_lo
	v_xor_b32_e32 v13, v11, v13
	v_mul_hi_u32 v16, v14, v0
	s_delay_alu instid0(VALU_DEP_3) | instskip(NEXT) | instid1(VALU_DEP_3)
	v_mad_u64_u32 v[6:7], null, v14, v15, 0
	v_mad_u64_u32 v[8:9], null, v13, v0, 0
	;; [unrolled: 1-line block ×3, first 2 shown]
	s_delay_alu instid0(VALU_DEP_3) | instskip(NEXT) | instid1(VALU_DEP_4)
	v_add_co_u32 v0, vcc_lo, v16, v6
	v_add_co_ci_u32_e32 v6, vcc_lo, 0, v7, vcc_lo
	s_delay_alu instid0(VALU_DEP_2) | instskip(NEXT) | instid1(VALU_DEP_2)
	v_add_co_u32 v0, vcc_lo, v0, v8
	v_add_co_ci_u32_e32 v0, vcc_lo, v6, v9, vcc_lo
	v_add_co_ci_u32_e32 v6, vcc_lo, 0, v11, vcc_lo
	s_delay_alu instid0(VALU_DEP_2) | instskip(NEXT) | instid1(VALU_DEP_2)
	v_add_co_u32 v0, vcc_lo, v0, v10
	v_add_co_ci_u32_e32 v8, vcc_lo, 0, v6, vcc_lo
	s_delay_alu instid0(VALU_DEP_2) | instskip(SKIP_1) | instid1(VALU_DEP_3)
	v_mul_lo_u32 v9, s7, v0
	v_mad_u64_u32 v[6:7], null, s6, v0, 0
	v_mul_lo_u32 v8, s6, v8
	s_delay_alu instid0(VALU_DEP_2) | instskip(NEXT) | instid1(VALU_DEP_2)
	v_sub_co_u32 v6, vcc_lo, v14, v6
	v_add3_u32 v7, v7, v8, v9
	v_add_co_u32 v9, s2, v0, 2
	s_delay_alu instid0(VALU_DEP_2) | instskip(NEXT) | instid1(VALU_DEP_1)
	v_sub_nc_u32_e32 v8, v13, v7
	v_subrev_co_ci_u32_e64 v8, s2, s7, v8, vcc_lo
	v_sub_co_u32 v10, s2, v6, s6
	v_sub_co_ci_u32_e32 v7, vcc_lo, v13, v7, vcc_lo
	s_delay_alu instid0(VALU_DEP_3) | instskip(NEXT) | instid1(VALU_DEP_3)
	v_subrev_co_ci_u32_e64 v8, s2, 0, v8, s2
	v_cmp_le_u32_e32 vcc_lo, s6, v10
	v_cndmask_b32_e64 v10, 0, -1, vcc_lo
	s_delay_alu instid0(VALU_DEP_3)
	v_cmp_le_u32_e32 vcc_lo, s7, v8
	v_cndmask_b32_e64 v11, 0, -1, vcc_lo
	v_cmp_le_u32_e32 vcc_lo, s6, v6
	v_cndmask_b32_e64 v6, 0, -1, vcc_lo
	;; [unrolled: 2-line block ×3, first 2 shown]
	v_cmp_eq_u32_e32 vcc_lo, s7, v8
	v_cndmask_b32_e32 v8, v11, v10, vcc_lo
	v_add_co_u32 v10, vcc_lo, v0, 1
	v_cmp_eq_u32_e32 vcc_lo, s7, v7
	v_cndmask_b32_e32 v6, v13, v6, vcc_lo
	s_delay_alu instid0(VALU_DEP_4) | instskip(NEXT) | instid1(VALU_DEP_4)
	v_cmp_ne_u32_e32 vcc_lo, 0, v8
	v_cndmask_b32_e32 v7, v10, v9, vcc_lo
	s_delay_alu instid0(VALU_DEP_3) | instskip(SKIP_1) | instid1(VALU_DEP_3)
	v_cmp_ne_u32_e32 vcc_lo, 0, v6
	v_xor_b32_e32 v6, s4, v12
	v_cndmask_b32_e32 v0, v0, v7, vcc_lo
	s_delay_alu instid0(VALU_DEP_1) | instskip(NEXT) | instid1(VALU_DEP_1)
	v_xor_b32_e32 v0, v0, v6
	v_sub_co_u32 v6, vcc_lo, v0, v6
.LBB49_11:
	s_and_not1_saveexec_b32 s2, s10
	s_cbranch_execz .LBB49_13
; %bb.12:
	v_cvt_f32_u32_e32 v0, s3
	s_sub_i32 s4, 0, s3
	s_delay_alu instid0(VALU_DEP_1) | instskip(SKIP_2) | instid1(VALU_DEP_1)
	v_rcp_iflag_f32_e32 v0, v0
	s_waitcnt_depctr 0xfff
	v_mul_f32_e32 v0, 0x4f7ffffe, v0
	v_cvt_u32_f32_e32 v0, v0
	s_delay_alu instid0(VALU_DEP_1) | instskip(NEXT) | instid1(VALU_DEP_1)
	v_mul_lo_u32 v6, s4, v0
	v_mul_hi_u32 v6, v0, v6
	s_delay_alu instid0(VALU_DEP_1) | instskip(NEXT) | instid1(VALU_DEP_1)
	v_add_nc_u32_e32 v0, v0, v6
	v_mul_hi_u32 v0, v1, v0
	s_delay_alu instid0(VALU_DEP_1) | instskip(SKIP_1) | instid1(VALU_DEP_2)
	v_mul_lo_u32 v6, v0, s3
	v_add_nc_u32_e32 v7, 1, v0
	v_sub_nc_u32_e32 v6, v1, v6
	s_delay_alu instid0(VALU_DEP_1) | instskip(SKIP_1) | instid1(VALU_DEP_2)
	v_subrev_nc_u32_e32 v8, s3, v6
	v_cmp_le_u32_e32 vcc_lo, s3, v6
	v_cndmask_b32_e32 v6, v6, v8, vcc_lo
	v_cndmask_b32_e32 v0, v0, v7, vcc_lo
	s_delay_alu instid0(VALU_DEP_2) | instskip(NEXT) | instid1(VALU_DEP_2)
	v_cmp_le_u32_e32 vcc_lo, s3, v6
	v_add_nc_u32_e32 v7, 1, v0
	s_delay_alu instid0(VALU_DEP_1)
	v_cndmask_b32_e32 v6, v0, v7, vcc_lo
.LBB49_13:
	s_or_b32 exec_lo, exec_lo, s2
	s_clause 0x2
	s_load_b32 s10, s[0:1], 0xc0
	s_load_b128 s[4:7], s[0:1], 0xb0
	s_load_b512 s[16:31], s[0:1], 0x18
	v_mul_lo_u32 v0, v4, s8
	v_mul_lo_u32 v4, v3, s9
	v_mad_u64_u32 v[7:8], null, v3, s8, 0
	s_load_b64 s[2:3], s[0:1], 0xa8
	s_delay_alu instid0(VALU_DEP_1) | instskip(NEXT) | instid1(VALU_DEP_2)
	v_add3_u32 v0, v8, v4, v0
	v_sub_co_u32 v9, vcc_lo, v1, v7
	s_delay_alu instid0(VALU_DEP_2)
	v_sub_co_ci_u32_e32 v4, vcc_lo, v2, v0, vcc_lo
	s_waitcnt lgkmcnt(0)
	s_add_i32 s15, s15, s10
	s_add_i32 s14, s14, s7
	;; [unrolled: 1-line block ×3, first 2 shown]
	s_sub_i32 s7, 0, s6
	s_add_i32 s18, s18, -1
	s_sub_i32 s8, 0, s5
	s_add_i32 s19, s6, s20
	s_max_i32 s11, s5, 0
	v_maxmin_i32 v1, s5, v5, s18
	s_add_i32 s5, s4, s16
	s_max_i32 s10, s6, 0
	s_max_i32 s7, s7, 0
	s_max_i32 s12, s8, 0
	s_add_i32 s19, s19, -1
	s_add_i32 s5, s5, -1
	s_sub_i32 s9, 0, s4
	v_maxmin_i32 v0, s6, v9, s19
	s_sub_i32 s6, s7, s10
	s_sub_i32 s7, s12, s11
	s_ashr_i32 s12, s15, 31
	v_maxmin_i32 v2, s4, v6, s5
	s_max_i32 s13, s9, 0
	s_max_i32 s17, s4, 0
	s_load_b64 s[8:9], s[0:1], 0x0
	s_mul_i32 s10, s22, s12
	s_mul_hi_u32 s11, s22, s15
	v_add_nc_u32_e32 v7, s7, v1
	s_add_i32 s4, s11, s10
	s_sub_i32 s10, s13, s17
	s_mul_i32 s5, s23, s15
	v_add_nc_u32_e32 v2, s10, v2
	v_add_nc_u32_e32 v10, s6, v0
	v_ashrrev_i32_e32 v3, 31, v7
	s_add_i32 s5, s4, s5
	s_mul_i32 s4, s22, s15
	v_ashrrev_i32_e32 v1, 31, v2
	v_mul_lo_u32 v11, s27, v2
	s_lshl_b64 s[4:5], s[4:5], 1
	v_mul_lo_u32 v12, s28, v3
	v_mul_lo_u32 v13, s29, v7
	;; [unrolled: 1-line block ×3, first 2 shown]
	v_mad_u64_u32 v[0:1], null, s26, v2, 0
	v_ashrrev_i32_e32 v14, 31, v10
	v_mad_u64_u32 v[2:3], null, s28, v7, 0
	s_waitcnt lgkmcnt(0)
	s_add_u32 s7, s8, s4
	s_addc_u32 s8, s9, s5
	s_ashr_i32 s13, s14, 31
	s_delay_alu instid0(VALU_DEP_3)
	v_add3_u32 v1, v1, v8, v11
	s_mul_i32 s4, s24, s13
	s_mul_hi_u32 s5, s24, s14
	v_mul_lo_u32 v11, s30, v14
	v_mul_lo_u32 v14, s31, v10
	v_mad_u64_u32 v[7:8], null, s30, v10, 0
	s_add_i32 s4, s5, s4
	s_mul_i32 s5, s25, s14
	v_add3_u32 v3, v3, v12, v13
	s_add_i32 s5, s4, s5
	s_mul_i32 s4, s24, s14
	v_lshlrev_b64 v[0:1], 1, v[0:1]
	s_lshl_b64 s[4:5], s[4:5], 1
	v_lshlrev_b64 v[2:3], 1, v[2:3]
	s_add_u32 s4, s7, s4
	v_add3_u32 v8, v8, v11, v14
	s_addc_u32 s5, s8, s5
	v_add_co_u32 v10, vcc_lo, s4, v0
	v_add_co_ci_u32_e32 v11, vcc_lo, s5, v1, vcc_lo
	s_delay_alu instid0(VALU_DEP_3) | instskip(NEXT) | instid1(VALU_DEP_3)
	v_lshlrev_b64 v[0:1], 1, v[7:8]
	v_add_co_u32 v2, vcc_lo, v10, v2
	s_delay_alu instid0(VALU_DEP_3) | instskip(NEXT) | instid1(VALU_DEP_2)
	v_add_co_ci_u32_e32 v3, vcc_lo, v11, v3, vcc_lo
	v_add_co_u32 v0, vcc_lo, v2, v0
	s_delay_alu instid0(VALU_DEP_2)
	v_add_co_ci_u32_e32 v1, vcc_lo, v3, v1, vcc_lo
	v_ashrrev_i32_e32 v2, 31, v5
	global_load_u16 v7, v[0:1], off
	s_clause 0x1
	s_load_b256 s[4:11], s[0:1], 0x88
	s_load_b64 s[0:1], s[0:1], 0x58
	v_ashrrev_i32_e32 v0, 31, v6
	s_waitcnt lgkmcnt(0)
	s_mul_i32 s12, s4, s12
	s_mul_hi_u32 s16, s4, s15
	v_mul_lo_u32 v8, s9, v6
	v_mul_lo_u32 v10, s8, v0
	v_mad_u64_u32 v[0:1], null, s8, v6, 0
	s_add_i32 s12, s16, s12
	s_mul_i32 s5, s5, s15
	s_mul_i32 s4, s4, s15
	s_add_i32 s5, s12, s5
	v_mul_lo_u32 v6, s11, v5
	v_mul_lo_u32 v11, s10, v2
	v_mad_u64_u32 v[2:3], null, s10, v5, 0
	s_lshl_b64 s[4:5], s[4:5], 1
	v_add3_u32 v1, v1, v10, v8
	s_add_u32 s4, s0, s4
	s_addc_u32 s5, s1, s5
	s_mul_i32 s0, s6, s13
	s_mul_hi_u32 s1, s6, s14
	v_mul_lo_u32 v8, s3, v9
	v_mul_lo_u32 v10, s2, v4
	v_mad_u64_u32 v[4:5], null, s2, v9, 0
	s_add_i32 s0, s1, s0
	s_mul_i32 s1, s7, s14
	v_add3_u32 v3, v3, v11, v6
	s_add_i32 s1, s0, s1
	s_mul_i32 s0, s6, s14
	v_lshlrev_b64 v[0:1], 1, v[0:1]
	s_lshl_b64 s[0:1], s[0:1], 1
	v_lshlrev_b64 v[2:3], 1, v[2:3]
	s_add_u32 s0, s4, s0
	v_add3_u32 v5, v5, v10, v8
	s_addc_u32 s1, s5, s1
	v_add_co_u32 v6, vcc_lo, s0, v0
	v_add_co_ci_u32_e32 v8, vcc_lo, s1, v1, vcc_lo
	s_delay_alu instid0(VALU_DEP_3) | instskip(NEXT) | instid1(VALU_DEP_3)
	v_lshlrev_b64 v[0:1], 1, v[4:5]
	v_add_co_u32 v2, vcc_lo, v6, v2
	s_delay_alu instid0(VALU_DEP_3) | instskip(NEXT) | instid1(VALU_DEP_2)
	v_add_co_ci_u32_e32 v3, vcc_lo, v8, v3, vcc_lo
	v_add_co_u32 v0, vcc_lo, v2, v0
	s_delay_alu instid0(VALU_DEP_2)
	v_add_co_ci_u32_e32 v1, vcc_lo, v3, v1, vcc_lo
	s_waitcnt vmcnt(0)
	global_store_b16 v[0:1], v7, off
.LBB49_14:
	s_nop 0
	s_sendmsg sendmsg(MSG_DEALLOC_VGPRS)
	s_endpgm
	.section	.rodata,"a",@progbits
	.p2align	6, 0x0
	.amdhsa_kernel _ZN2at6native12_GLOBAL__N_132replication_pad_forward_kernel3dIN3c104HalfEEEvN5torch10headeronly6detail27GenericPackedTensorAccessorINS7_14TensorAccessorINS3_8ArrayRefIlEEKT_Lm4ENS6_16DefaultPtrTraitsElEENS_6detail16IndexBoundsCheckILm5ElEESD_Lm5ESE_lEENS8_INS9_ISB_SC_Lm4ESE_lEESI_SC_Lm5ESE_lEEiiiii
		.amdhsa_group_segment_fixed_size 0
		.amdhsa_private_segment_fixed_size 0
		.amdhsa_kernarg_size 456
		.amdhsa_user_sgpr_count 13
		.amdhsa_user_sgpr_dispatch_ptr 0
		.amdhsa_user_sgpr_queue_ptr 0
		.amdhsa_user_sgpr_kernarg_segment_ptr 1
		.amdhsa_user_sgpr_dispatch_id 0
		.amdhsa_user_sgpr_private_segment_size 0
		.amdhsa_wavefront_size32 1
		.amdhsa_uses_dynamic_stack 0
		.amdhsa_enable_private_segment 0
		.amdhsa_system_sgpr_workgroup_id_x 1
		.amdhsa_system_sgpr_workgroup_id_y 1
		.amdhsa_system_sgpr_workgroup_id_z 1
		.amdhsa_system_sgpr_workgroup_info 0
		.amdhsa_system_vgpr_workitem_id 0
		.amdhsa_next_free_vgpr 17
		.amdhsa_next_free_sgpr 32
		.amdhsa_reserve_vcc 1
		.amdhsa_float_round_mode_32 0
		.amdhsa_float_round_mode_16_64 0
		.amdhsa_float_denorm_mode_32 3
		.amdhsa_float_denorm_mode_16_64 3
		.amdhsa_dx10_clamp 1
		.amdhsa_ieee_mode 1
		.amdhsa_fp16_overflow 0
		.amdhsa_workgroup_processor_mode 1
		.amdhsa_memory_ordered 1
		.amdhsa_forward_progress 0
		.amdhsa_shared_vgpr_count 0
		.amdhsa_exception_fp_ieee_invalid_op 0
		.amdhsa_exception_fp_denorm_src 0
		.amdhsa_exception_fp_ieee_div_zero 0
		.amdhsa_exception_fp_ieee_overflow 0
		.amdhsa_exception_fp_ieee_underflow 0
		.amdhsa_exception_fp_ieee_inexact 0
		.amdhsa_exception_int_div_zero 0
	.end_amdhsa_kernel
	.section	.text._ZN2at6native12_GLOBAL__N_132replication_pad_forward_kernel3dIN3c104HalfEEEvN5torch10headeronly6detail27GenericPackedTensorAccessorINS7_14TensorAccessorINS3_8ArrayRefIlEEKT_Lm4ENS6_16DefaultPtrTraitsElEENS_6detail16IndexBoundsCheckILm5ElEESD_Lm5ESE_lEENS8_INS9_ISB_SC_Lm4ESE_lEESI_SC_Lm5ESE_lEEiiiii,"axG",@progbits,_ZN2at6native12_GLOBAL__N_132replication_pad_forward_kernel3dIN3c104HalfEEEvN5torch10headeronly6detail27GenericPackedTensorAccessorINS7_14TensorAccessorINS3_8ArrayRefIlEEKT_Lm4ENS6_16DefaultPtrTraitsElEENS_6detail16IndexBoundsCheckILm5ElEESD_Lm5ESE_lEENS8_INS9_ISB_SC_Lm4ESE_lEESI_SC_Lm5ESE_lEEiiiii,comdat
.Lfunc_end49:
	.size	_ZN2at6native12_GLOBAL__N_132replication_pad_forward_kernel3dIN3c104HalfEEEvN5torch10headeronly6detail27GenericPackedTensorAccessorINS7_14TensorAccessorINS3_8ArrayRefIlEEKT_Lm4ENS6_16DefaultPtrTraitsElEENS_6detail16IndexBoundsCheckILm5ElEESD_Lm5ESE_lEENS8_INS9_ISB_SC_Lm4ESE_lEESI_SC_Lm5ESE_lEEiiiii, .Lfunc_end49-_ZN2at6native12_GLOBAL__N_132replication_pad_forward_kernel3dIN3c104HalfEEEvN5torch10headeronly6detail27GenericPackedTensorAccessorINS7_14TensorAccessorINS3_8ArrayRefIlEEKT_Lm4ENS6_16DefaultPtrTraitsElEENS_6detail16IndexBoundsCheckILm5ElEESD_Lm5ESE_lEENS8_INS9_ISB_SC_Lm4ESE_lEESI_SC_Lm5ESE_lEEiiiii
                                        ; -- End function
	.section	.AMDGPU.csdata,"",@progbits
; Kernel info:
; codeLenInByte = 3796
; NumSgprs: 34
; NumVgprs: 17
; ScratchSize: 0
; MemoryBound: 0
; FloatMode: 240
; IeeeMode: 1
; LDSByteSize: 0 bytes/workgroup (compile time only)
; SGPRBlocks: 4
; VGPRBlocks: 2
; NumSGPRsForWavesPerEU: 34
; NumVGPRsForWavesPerEU: 17
; Occupancy: 16
; WaveLimiterHint : 1
; COMPUTE_PGM_RSRC2:SCRATCH_EN: 0
; COMPUTE_PGM_RSRC2:USER_SGPR: 13
; COMPUTE_PGM_RSRC2:TRAP_HANDLER: 0
; COMPUTE_PGM_RSRC2:TGID_X_EN: 1
; COMPUTE_PGM_RSRC2:TGID_Y_EN: 1
; COMPUTE_PGM_RSRC2:TGID_Z_EN: 1
; COMPUTE_PGM_RSRC2:TIDIG_COMP_CNT: 0
	.section	.text._ZN2at6native12_GLOBAL__N_132replication_pad_forward_kernel3dIN3c108BFloat16EEEvN5torch10headeronly6detail27GenericPackedTensorAccessorINS7_14TensorAccessorINS3_8ArrayRefIlEEKT_Lm4ENS6_16DefaultPtrTraitsElEENS_6detail16IndexBoundsCheckILm5ElEESD_Lm5ESE_lEENS8_INS9_ISB_SC_Lm4ESE_lEESI_SC_Lm5ESE_lEEiiiii,"axG",@progbits,_ZN2at6native12_GLOBAL__N_132replication_pad_forward_kernel3dIN3c108BFloat16EEEvN5torch10headeronly6detail27GenericPackedTensorAccessorINS7_14TensorAccessorINS3_8ArrayRefIlEEKT_Lm4ENS6_16DefaultPtrTraitsElEENS_6detail16IndexBoundsCheckILm5ElEESD_Lm5ESE_lEENS8_INS9_ISB_SC_Lm4ESE_lEESI_SC_Lm5ESE_lEEiiiii,comdat
	.globl	_ZN2at6native12_GLOBAL__N_132replication_pad_forward_kernel3dIN3c108BFloat16EEEvN5torch10headeronly6detail27GenericPackedTensorAccessorINS7_14TensorAccessorINS3_8ArrayRefIlEEKT_Lm4ENS6_16DefaultPtrTraitsElEENS_6detail16IndexBoundsCheckILm5ElEESD_Lm5ESE_lEENS8_INS9_ISB_SC_Lm4ESE_lEESI_SC_Lm5ESE_lEEiiiii ; -- Begin function _ZN2at6native12_GLOBAL__N_132replication_pad_forward_kernel3dIN3c108BFloat16EEEvN5torch10headeronly6detail27GenericPackedTensorAccessorINS7_14TensorAccessorINS3_8ArrayRefIlEEKT_Lm4ENS6_16DefaultPtrTraitsElEENS_6detail16IndexBoundsCheckILm5ElEESD_Lm5ESE_lEENS8_INS9_ISB_SC_Lm4ESE_lEESI_SC_Lm5ESE_lEEiiiii
	.p2align	8
	.type	_ZN2at6native12_GLOBAL__N_132replication_pad_forward_kernel3dIN3c108BFloat16EEEvN5torch10headeronly6detail27GenericPackedTensorAccessorINS7_14TensorAccessorINS3_8ArrayRefIlEEKT_Lm4ENS6_16DefaultPtrTraitsElEENS_6detail16IndexBoundsCheckILm5ElEESD_Lm5ESE_lEENS8_INS9_ISB_SC_Lm4ESE_lEESI_SC_Lm5ESE_lEEiiiii,@function
_ZN2at6native12_GLOBAL__N_132replication_pad_forward_kernel3dIN3c108BFloat16EEEvN5torch10headeronly6detail27GenericPackedTensorAccessorINS7_14TensorAccessorINS3_8ArrayRefIlEEKT_Lm4ENS6_16DefaultPtrTraitsElEENS_6detail16IndexBoundsCheckILm5ElEESD_Lm5ESE_lEENS8_INS9_ISB_SC_Lm4ESE_lEESI_SC_Lm5ESE_lEEiiiii: ; @_ZN2at6native12_GLOBAL__N_132replication_pad_forward_kernel3dIN3c108BFloat16EEEvN5torch10headeronly6detail27GenericPackedTensorAccessorINS7_14TensorAccessorINS3_8ArrayRefIlEEKT_Lm4ENS6_16DefaultPtrTraitsElEENS_6detail16IndexBoundsCheckILm5ElEESD_Lm5ESE_lEENS8_INS9_ISB_SC_Lm4ESE_lEESI_SC_Lm5ESE_lEEiiiii
; %bb.0:
	s_clause 0x2
	s_load_b32 s2, s[0:1], 0xd4
	s_load_b128 s[4:7], s[0:1], 0x70
	s_load_b64 s[8:9], s[0:1], 0x80
	s_waitcnt lgkmcnt(0)
	s_and_b32 s2, s2, 0xffff
	s_delay_alu instid0(SALU_CYCLE_1)
	v_mad_u64_u32 v[1:2], null, s13, s2, v[0:1]
	s_mul_i32 s10, s8, s7
	s_mul_hi_u32 s11, s8, s6
	s_mul_i32 s2, s9, s6
	s_mul_i32 s3, s8, s6
	s_add_i32 s12, s11, s10
	s_mul_i32 s5, s3, s5
	s_mul_hi_u32 s10, s3, s4
	s_add_i32 s12, s12, s2
	v_ashrrev_i32_e32 v2, 31, v1
	s_add_i32 s2, s10, s5
	s_mul_i32 s5, s12, s4
	s_mul_i32 s4, s3, s4
	s_add_i32 s5, s2, s5
	s_mov_b32 s2, exec_lo
	v_cmpx_gt_i64_e64 s[4:5], v[1:2]
	s_cbranch_execz .LBB50_14
; %bb.1:
	v_or_b32_e32 v4, s9, v2
	v_mov_b32_e32 v3, 0
	s_delay_alu instid0(VALU_DEP_1) | instskip(SKIP_1) | instid1(SALU_CYCLE_1)
	v_cmp_ne_u64_e32 vcc_lo, 0, v[3:4]
                                        ; implicit-def: $vgpr3_vgpr4
	s_and_saveexec_b32 s2, vcc_lo
	s_xor_b32 s13, exec_lo, s2
	s_cbranch_execz .LBB50_3
; %bb.2:
	s_ashr_i32 s4, s9, 31
	s_delay_alu instid0(SALU_CYCLE_1) | instskip(SKIP_2) | instid1(SALU_CYCLE_1)
	s_add_u32 s10, s8, s4
	s_mov_b32 s5, s4
	s_addc_u32 s11, s9, s4
	s_xor_b64 s[10:11], s[10:11], s[4:5]
	s_delay_alu instid0(SALU_CYCLE_1) | instskip(SKIP_3) | instid1(VALU_DEP_1)
	v_cvt_f32_u32_e32 v0, s10
	v_cvt_f32_u32_e32 v3, s11
	s_sub_u32 s2, 0, s10
	s_subb_u32 s5, 0, s11
	v_fmamk_f32 v0, v3, 0x4f800000, v0
	s_delay_alu instid0(VALU_DEP_1) | instskip(SKIP_2) | instid1(VALU_DEP_1)
	v_rcp_f32_e32 v0, v0
	s_waitcnt_depctr 0xfff
	v_mul_f32_e32 v0, 0x5f7ffffc, v0
	v_mul_f32_e32 v3, 0x2f800000, v0
	s_delay_alu instid0(VALU_DEP_1) | instskip(NEXT) | instid1(VALU_DEP_1)
	v_trunc_f32_e32 v3, v3
	v_fmamk_f32 v0, v3, 0xcf800000, v0
	v_cvt_u32_f32_e32 v3, v3
	s_delay_alu instid0(VALU_DEP_2) | instskip(NEXT) | instid1(VALU_DEP_2)
	v_cvt_u32_f32_e32 v0, v0
	v_mul_lo_u32 v4, s2, v3
	s_delay_alu instid0(VALU_DEP_2) | instskip(SKIP_1) | instid1(VALU_DEP_2)
	v_mul_hi_u32 v5, s2, v0
	v_mul_lo_u32 v6, s5, v0
	v_add_nc_u32_e32 v4, v5, v4
	v_mul_lo_u32 v5, s2, v0
	s_delay_alu instid0(VALU_DEP_2) | instskip(NEXT) | instid1(VALU_DEP_2)
	v_add_nc_u32_e32 v4, v4, v6
	v_mul_hi_u32 v6, v0, v5
	s_delay_alu instid0(VALU_DEP_2)
	v_mul_lo_u32 v7, v0, v4
	v_mul_hi_u32 v8, v0, v4
	v_mul_hi_u32 v9, v3, v5
	v_mul_lo_u32 v5, v3, v5
	v_mul_hi_u32 v10, v3, v4
	v_mul_lo_u32 v4, v3, v4
	v_add_co_u32 v6, vcc_lo, v6, v7
	v_add_co_ci_u32_e32 v7, vcc_lo, 0, v8, vcc_lo
	s_delay_alu instid0(VALU_DEP_2) | instskip(NEXT) | instid1(VALU_DEP_2)
	v_add_co_u32 v5, vcc_lo, v6, v5
	v_add_co_ci_u32_e32 v5, vcc_lo, v7, v9, vcc_lo
	v_add_co_ci_u32_e32 v6, vcc_lo, 0, v10, vcc_lo
	v_ashrrev_i32_e32 v9, 31, v2
	s_delay_alu instid0(VALU_DEP_3) | instskip(NEXT) | instid1(VALU_DEP_3)
	v_add_co_u32 v4, vcc_lo, v5, v4
	v_add_co_ci_u32_e32 v5, vcc_lo, 0, v6, vcc_lo
	s_delay_alu instid0(VALU_DEP_2) | instskip(NEXT) | instid1(VALU_DEP_2)
	v_add_co_u32 v0, vcc_lo, v0, v4
	v_add_co_ci_u32_e32 v3, vcc_lo, v3, v5, vcc_lo
	s_delay_alu instid0(VALU_DEP_2) | instskip(SKIP_1) | instid1(VALU_DEP_3)
	v_mul_hi_u32 v4, s2, v0
	v_mul_lo_u32 v6, s5, v0
	v_mul_lo_u32 v5, s2, v3
	s_delay_alu instid0(VALU_DEP_1) | instskip(SKIP_1) | instid1(VALU_DEP_2)
	v_add_nc_u32_e32 v4, v4, v5
	v_mul_lo_u32 v5, s2, v0
	v_add_nc_u32_e32 v4, v4, v6
	s_delay_alu instid0(VALU_DEP_2) | instskip(NEXT) | instid1(VALU_DEP_2)
	v_mul_hi_u32 v6, v0, v5
	v_mul_lo_u32 v7, v0, v4
	v_mul_hi_u32 v8, v0, v4
	v_mul_hi_u32 v10, v3, v5
	v_mul_lo_u32 v5, v3, v5
	v_mul_hi_u32 v11, v3, v4
	v_mul_lo_u32 v4, v3, v4
	v_add_co_u32 v6, vcc_lo, v6, v7
	v_add_co_ci_u32_e32 v7, vcc_lo, 0, v8, vcc_lo
	s_delay_alu instid0(VALU_DEP_2) | instskip(NEXT) | instid1(VALU_DEP_2)
	v_add_co_u32 v5, vcc_lo, v6, v5
	v_add_co_ci_u32_e32 v5, vcc_lo, v7, v10, vcc_lo
	v_add_co_ci_u32_e32 v6, vcc_lo, 0, v11, vcc_lo
	v_add_co_u32 v7, vcc_lo, v1, v9
	v_add_co_ci_u32_e32 v8, vcc_lo, v2, v9, vcc_lo
	s_delay_alu instid0(VALU_DEP_4) | instskip(NEXT) | instid1(VALU_DEP_4)
	v_add_co_u32 v4, vcc_lo, v5, v4
	v_add_co_ci_u32_e32 v5, vcc_lo, 0, v6, vcc_lo
	s_delay_alu instid0(VALU_DEP_4) | instskip(NEXT) | instid1(VALU_DEP_3)
	v_xor_b32_e32 v10, v7, v9
	v_add_co_u32 v0, vcc_lo, v0, v4
	s_delay_alu instid0(VALU_DEP_3) | instskip(SKIP_1) | instid1(VALU_DEP_3)
	v_add_co_ci_u32_e32 v11, vcc_lo, v3, v5, vcc_lo
	v_xor_b32_e32 v12, v8, v9
	v_mul_hi_u32 v13, v10, v0
	s_delay_alu instid0(VALU_DEP_3) | instskip(NEXT) | instid1(VALU_DEP_3)
	v_mad_u64_u32 v[3:4], null, v10, v11, 0
	v_mad_u64_u32 v[5:6], null, v12, v0, 0
	;; [unrolled: 1-line block ×3, first 2 shown]
	s_delay_alu instid0(VALU_DEP_3) | instskip(NEXT) | instid1(VALU_DEP_4)
	v_add_co_u32 v0, vcc_lo, v13, v3
	v_add_co_ci_u32_e32 v3, vcc_lo, 0, v4, vcc_lo
	s_delay_alu instid0(VALU_DEP_2) | instskip(NEXT) | instid1(VALU_DEP_2)
	v_add_co_u32 v0, vcc_lo, v0, v5
	v_add_co_ci_u32_e32 v0, vcc_lo, v3, v6, vcc_lo
	v_add_co_ci_u32_e32 v3, vcc_lo, 0, v8, vcc_lo
	s_delay_alu instid0(VALU_DEP_2) | instskip(NEXT) | instid1(VALU_DEP_2)
	v_add_co_u32 v0, vcc_lo, v0, v7
	v_add_co_ci_u32_e32 v5, vcc_lo, 0, v3, vcc_lo
	s_delay_alu instid0(VALU_DEP_2) | instskip(SKIP_1) | instid1(VALU_DEP_3)
	v_mul_lo_u32 v6, s11, v0
	v_mad_u64_u32 v[3:4], null, s10, v0, 0
	v_mul_lo_u32 v7, s10, v5
	s_delay_alu instid0(VALU_DEP_2) | instskip(NEXT) | instid1(VALU_DEP_2)
	v_sub_co_u32 v3, vcc_lo, v10, v3
	v_add3_u32 v4, v4, v7, v6
	s_delay_alu instid0(VALU_DEP_1) | instskip(NEXT) | instid1(VALU_DEP_1)
	v_sub_nc_u32_e32 v6, v12, v4
	v_subrev_co_ci_u32_e64 v6, s2, s11, v6, vcc_lo
	v_add_co_u32 v7, s2, v0, 2
	s_delay_alu instid0(VALU_DEP_1) | instskip(SKIP_3) | instid1(VALU_DEP_3)
	v_add_co_ci_u32_e64 v8, s2, 0, v5, s2
	v_sub_co_u32 v10, s2, v3, s10
	v_sub_co_ci_u32_e32 v4, vcc_lo, v12, v4, vcc_lo
	v_subrev_co_ci_u32_e64 v6, s2, 0, v6, s2
	v_cmp_le_u32_e32 vcc_lo, s10, v10
	s_delay_alu instid0(VALU_DEP_3) | instskip(SKIP_1) | instid1(VALU_DEP_4)
	v_cmp_eq_u32_e64 s2, s11, v4
	v_cndmask_b32_e64 v10, 0, -1, vcc_lo
	v_cmp_le_u32_e32 vcc_lo, s11, v6
	v_cndmask_b32_e64 v11, 0, -1, vcc_lo
	v_cmp_le_u32_e32 vcc_lo, s10, v3
	;; [unrolled: 2-line block ×3, first 2 shown]
	v_cndmask_b32_e64 v12, 0, -1, vcc_lo
	v_cmp_eq_u32_e32 vcc_lo, s11, v6
	s_delay_alu instid0(VALU_DEP_2) | instskip(SKIP_3) | instid1(VALU_DEP_3)
	v_cndmask_b32_e64 v3, v12, v3, s2
	v_cndmask_b32_e32 v6, v11, v10, vcc_lo
	v_add_co_u32 v10, vcc_lo, v0, 1
	v_add_co_ci_u32_e32 v11, vcc_lo, 0, v5, vcc_lo
	v_cmp_ne_u32_e32 vcc_lo, 0, v6
	s_delay_alu instid0(VALU_DEP_2) | instskip(NEXT) | instid1(VALU_DEP_4)
	v_cndmask_b32_e32 v4, v11, v8, vcc_lo
	v_cndmask_b32_e32 v6, v10, v7, vcc_lo
	v_cmp_ne_u32_e32 vcc_lo, 0, v3
	v_xor_b32_e32 v7, s4, v9
	s_delay_alu instid0(VALU_DEP_3) | instskip(NEXT) | instid1(VALU_DEP_1)
	v_dual_cndmask_b32 v0, v0, v6 :: v_dual_cndmask_b32 v3, v5, v4
	v_xor_b32_e32 v0, v0, v7
	s_delay_alu instid0(VALU_DEP_2) | instskip(NEXT) | instid1(VALU_DEP_2)
	v_xor_b32_e32 v4, v3, v7
	v_sub_co_u32 v3, vcc_lo, v0, v7
	s_delay_alu instid0(VALU_DEP_2)
	v_sub_co_ci_u32_e32 v4, vcc_lo, v4, v7, vcc_lo
.LBB50_3:
	s_and_not1_saveexec_b32 s2, s13
	s_cbranch_execz .LBB50_5
; %bb.4:
	v_cvt_f32_u32_e32 v0, s8
	s_sub_i32 s4, 0, s8
	s_delay_alu instid0(VALU_DEP_1) | instskip(SKIP_2) | instid1(VALU_DEP_1)
	v_rcp_iflag_f32_e32 v0, v0
	s_waitcnt_depctr 0xfff
	v_mul_f32_e32 v0, 0x4f7ffffe, v0
	v_cvt_u32_f32_e32 v0, v0
	s_delay_alu instid0(VALU_DEP_1) | instskip(NEXT) | instid1(VALU_DEP_1)
	v_mul_lo_u32 v3, s4, v0
	v_mul_hi_u32 v3, v0, v3
	s_delay_alu instid0(VALU_DEP_1) | instskip(NEXT) | instid1(VALU_DEP_1)
	v_add_nc_u32_e32 v0, v0, v3
	v_mul_hi_u32 v0, v1, v0
	s_delay_alu instid0(VALU_DEP_1) | instskip(SKIP_1) | instid1(VALU_DEP_2)
	v_mul_lo_u32 v3, v0, s8
	v_add_nc_u32_e32 v4, 1, v0
	v_sub_nc_u32_e32 v3, v1, v3
	s_delay_alu instid0(VALU_DEP_1) | instskip(SKIP_1) | instid1(VALU_DEP_2)
	v_subrev_nc_u32_e32 v5, s8, v3
	v_cmp_le_u32_e32 vcc_lo, s8, v3
	v_dual_cndmask_b32 v3, v3, v5 :: v_dual_cndmask_b32 v0, v0, v4
	s_delay_alu instid0(VALU_DEP_1) | instskip(NEXT) | instid1(VALU_DEP_2)
	v_cmp_le_u32_e32 vcc_lo, s8, v3
	v_add_nc_u32_e32 v4, 1, v0
	s_delay_alu instid0(VALU_DEP_1)
	v_dual_cndmask_b32 v3, v0, v4 :: v_dual_mov_b32 v4, 0
.LBB50_5:
	s_or_b32 exec_lo, exec_lo, s2
	s_delay_alu instid0(VALU_DEP_1) | instskip(SKIP_1) | instid1(VALU_DEP_1)
	v_or_b32_e32 v6, s7, v4
	v_mov_b32_e32 v5, 0
	v_cmp_ne_u64_e32 vcc_lo, 0, v[5:6]
                                        ; implicit-def: $vgpr5_vgpr6
	s_and_saveexec_b32 s2, vcc_lo
	s_delay_alu instid0(SALU_CYCLE_1)
	s_xor_b32 s10, exec_lo, s2
	s_cbranch_execz .LBB50_7
; %bb.6:
	s_ashr_i32 s4, s7, 31
	s_delay_alu instid0(SALU_CYCLE_1) | instskip(SKIP_2) | instid1(SALU_CYCLE_1)
	s_add_u32 s16, s6, s4
	s_mov_b32 s5, s4
	s_addc_u32 s17, s7, s4
	s_xor_b64 s[4:5], s[16:17], s[4:5]
	s_delay_alu instid0(SALU_CYCLE_1) | instskip(SKIP_3) | instid1(VALU_DEP_1)
	v_cvt_f32_u32_e32 v0, s4
	v_cvt_f32_u32_e32 v5, s5
	s_sub_u32 s2, 0, s4
	s_subb_u32 s7, 0, s5
	v_fmamk_f32 v0, v5, 0x4f800000, v0
	s_delay_alu instid0(VALU_DEP_1) | instskip(SKIP_2) | instid1(VALU_DEP_1)
	v_rcp_f32_e32 v0, v0
	s_waitcnt_depctr 0xfff
	v_mul_f32_e32 v0, 0x5f7ffffc, v0
	v_mul_f32_e32 v5, 0x2f800000, v0
	s_delay_alu instid0(VALU_DEP_1) | instskip(NEXT) | instid1(VALU_DEP_1)
	v_trunc_f32_e32 v5, v5
	v_fmamk_f32 v0, v5, 0xcf800000, v0
	v_cvt_u32_f32_e32 v5, v5
	s_delay_alu instid0(VALU_DEP_2) | instskip(NEXT) | instid1(VALU_DEP_2)
	v_cvt_u32_f32_e32 v0, v0
	v_mul_lo_u32 v6, s2, v5
	s_delay_alu instid0(VALU_DEP_2) | instskip(SKIP_1) | instid1(VALU_DEP_2)
	v_mul_hi_u32 v7, s2, v0
	v_mul_lo_u32 v8, s7, v0
	v_add_nc_u32_e32 v6, v7, v6
	v_mul_lo_u32 v7, s2, v0
	s_delay_alu instid0(VALU_DEP_2) | instskip(NEXT) | instid1(VALU_DEP_2)
	v_add_nc_u32_e32 v6, v6, v8
	v_mul_hi_u32 v8, v0, v7
	s_delay_alu instid0(VALU_DEP_2)
	v_mul_lo_u32 v9, v0, v6
	v_mul_hi_u32 v10, v0, v6
	v_mul_hi_u32 v11, v5, v7
	v_mul_lo_u32 v7, v5, v7
	v_mul_hi_u32 v12, v5, v6
	v_mul_lo_u32 v6, v5, v6
	v_add_co_u32 v8, vcc_lo, v8, v9
	v_add_co_ci_u32_e32 v9, vcc_lo, 0, v10, vcc_lo
	s_delay_alu instid0(VALU_DEP_2) | instskip(NEXT) | instid1(VALU_DEP_2)
	v_add_co_u32 v7, vcc_lo, v8, v7
	v_add_co_ci_u32_e32 v7, vcc_lo, v9, v11, vcc_lo
	v_add_co_ci_u32_e32 v8, vcc_lo, 0, v12, vcc_lo
	v_ashrrev_i32_e32 v11, 31, v4
	s_delay_alu instid0(VALU_DEP_3) | instskip(NEXT) | instid1(VALU_DEP_3)
	v_add_co_u32 v6, vcc_lo, v7, v6
	v_add_co_ci_u32_e32 v7, vcc_lo, 0, v8, vcc_lo
	s_delay_alu instid0(VALU_DEP_2) | instskip(NEXT) | instid1(VALU_DEP_2)
	v_add_co_u32 v0, vcc_lo, v0, v6
	v_add_co_ci_u32_e32 v5, vcc_lo, v5, v7, vcc_lo
	s_delay_alu instid0(VALU_DEP_2) | instskip(SKIP_1) | instid1(VALU_DEP_3)
	v_mul_hi_u32 v6, s2, v0
	v_mul_lo_u32 v8, s7, v0
	v_mul_lo_u32 v7, s2, v5
	s_delay_alu instid0(VALU_DEP_1) | instskip(SKIP_1) | instid1(VALU_DEP_2)
	v_add_nc_u32_e32 v6, v6, v7
	v_mul_lo_u32 v7, s2, v0
	v_add_nc_u32_e32 v6, v6, v8
	s_delay_alu instid0(VALU_DEP_2) | instskip(NEXT) | instid1(VALU_DEP_2)
	v_mul_hi_u32 v8, v0, v7
	v_mul_lo_u32 v9, v0, v6
	v_mul_hi_u32 v10, v0, v6
	v_mul_hi_u32 v12, v5, v7
	v_mul_lo_u32 v7, v5, v7
	v_mul_hi_u32 v13, v5, v6
	v_mul_lo_u32 v6, v5, v6
	v_add_co_u32 v8, vcc_lo, v8, v9
	v_add_co_ci_u32_e32 v9, vcc_lo, 0, v10, vcc_lo
	s_delay_alu instid0(VALU_DEP_2) | instskip(NEXT) | instid1(VALU_DEP_2)
	v_add_co_u32 v7, vcc_lo, v8, v7
	v_add_co_ci_u32_e32 v7, vcc_lo, v9, v12, vcc_lo
	v_add_co_ci_u32_e32 v8, vcc_lo, 0, v13, vcc_lo
	v_add_co_u32 v9, vcc_lo, v3, v11
	v_add_co_ci_u32_e32 v10, vcc_lo, v4, v11, vcc_lo
	s_delay_alu instid0(VALU_DEP_4) | instskip(NEXT) | instid1(VALU_DEP_4)
	v_add_co_u32 v6, vcc_lo, v7, v6
	v_add_co_ci_u32_e32 v7, vcc_lo, 0, v8, vcc_lo
	s_delay_alu instid0(VALU_DEP_4) | instskip(NEXT) | instid1(VALU_DEP_3)
	v_xor_b32_e32 v12, v9, v11
	v_add_co_u32 v0, vcc_lo, v0, v6
	s_delay_alu instid0(VALU_DEP_3) | instskip(SKIP_1) | instid1(VALU_DEP_3)
	v_add_co_ci_u32_e32 v13, vcc_lo, v5, v7, vcc_lo
	v_xor_b32_e32 v14, v10, v11
	v_mul_hi_u32 v15, v12, v0
	s_delay_alu instid0(VALU_DEP_3) | instskip(NEXT) | instid1(VALU_DEP_3)
	v_mad_u64_u32 v[5:6], null, v12, v13, 0
	v_mad_u64_u32 v[7:8], null, v14, v0, 0
	;; [unrolled: 1-line block ×3, first 2 shown]
	s_delay_alu instid0(VALU_DEP_3) | instskip(NEXT) | instid1(VALU_DEP_4)
	v_add_co_u32 v0, vcc_lo, v15, v5
	v_add_co_ci_u32_e32 v5, vcc_lo, 0, v6, vcc_lo
	s_delay_alu instid0(VALU_DEP_2) | instskip(NEXT) | instid1(VALU_DEP_2)
	v_add_co_u32 v0, vcc_lo, v0, v7
	v_add_co_ci_u32_e32 v0, vcc_lo, v5, v8, vcc_lo
	v_add_co_ci_u32_e32 v5, vcc_lo, 0, v10, vcc_lo
	s_delay_alu instid0(VALU_DEP_2) | instskip(NEXT) | instid1(VALU_DEP_2)
	v_add_co_u32 v0, vcc_lo, v0, v9
	v_add_co_ci_u32_e32 v7, vcc_lo, 0, v5, vcc_lo
	s_delay_alu instid0(VALU_DEP_2) | instskip(SKIP_1) | instid1(VALU_DEP_3)
	v_mul_lo_u32 v8, s5, v0
	v_mad_u64_u32 v[5:6], null, s4, v0, 0
	v_mul_lo_u32 v0, s4, v7
	s_delay_alu instid0(VALU_DEP_2) | instskip(NEXT) | instid1(VALU_DEP_2)
	v_sub_co_u32 v5, vcc_lo, v12, v5
	v_add3_u32 v0, v6, v0, v8
	s_delay_alu instid0(VALU_DEP_1) | instskip(NEXT) | instid1(VALU_DEP_1)
	v_sub_nc_u32_e32 v6, v14, v0
	v_subrev_co_ci_u32_e64 v6, s2, s5, v6, vcc_lo
	s_delay_alu instid0(VALU_DEP_4) | instskip(SKIP_1) | instid1(VALU_DEP_3)
	v_sub_co_u32 v7, s2, v5, s4
	v_sub_co_ci_u32_e32 v0, vcc_lo, v14, v0, vcc_lo
	v_subrev_co_ci_u32_e64 v6, s2, 0, v6, s2
	s_delay_alu instid0(VALU_DEP_3) | instskip(SKIP_1) | instid1(VALU_DEP_3)
	v_cmp_le_u32_e32 vcc_lo, s4, v7
	v_cndmask_b32_e64 v8, 0, -1, vcc_lo
	v_cmp_le_u32_e32 vcc_lo, s5, v6
	v_cndmask_b32_e64 v9, 0, -1, vcc_lo
	;; [unrolled: 2-line block ×4, first 2 shown]
	v_cmp_eq_u32_e32 vcc_lo, s5, v6
	v_cndmask_b32_e32 v6, v9, v8, vcc_lo
	v_sub_co_u32 v8, vcc_lo, v7, s4
	v_cmp_eq_u32_e32 vcc_lo, s5, v0
	v_cndmask_b32_e32 v0, v12, v10, vcc_lo
	s_delay_alu instid0(VALU_DEP_4) | instskip(NEXT) | instid1(VALU_DEP_4)
	v_cmp_ne_u32_e32 vcc_lo, 0, v6
	v_cndmask_b32_e32 v6, v7, v8, vcc_lo
	s_delay_alu instid0(VALU_DEP_3) | instskip(NEXT) | instid1(VALU_DEP_2)
	v_cmp_ne_u32_e32 vcc_lo, 0, v0
	v_cndmask_b32_e32 v0, v5, v6, vcc_lo
	s_delay_alu instid0(VALU_DEP_1) | instskip(NEXT) | instid1(VALU_DEP_1)
	v_xor_b32_e32 v0, v0, v11
	v_sub_co_u32 v5, vcc_lo, v0, v11
.LBB50_7:
	s_and_not1_saveexec_b32 s2, s10
	s_cbranch_execz .LBB50_9
; %bb.8:
	v_cvt_f32_u32_e32 v0, s6
	s_sub_i32 s4, 0, s6
	s_delay_alu instid0(VALU_DEP_1) | instskip(SKIP_2) | instid1(VALU_DEP_1)
	v_rcp_iflag_f32_e32 v0, v0
	s_waitcnt_depctr 0xfff
	v_mul_f32_e32 v0, 0x4f7ffffe, v0
	v_cvt_u32_f32_e32 v0, v0
	s_delay_alu instid0(VALU_DEP_1) | instskip(NEXT) | instid1(VALU_DEP_1)
	v_mul_lo_u32 v5, s4, v0
	v_mul_hi_u32 v5, v0, v5
	s_delay_alu instid0(VALU_DEP_1) | instskip(NEXT) | instid1(VALU_DEP_1)
	v_add_nc_u32_e32 v0, v0, v5
	v_mul_hi_u32 v0, v3, v0
	s_delay_alu instid0(VALU_DEP_1) | instskip(NEXT) | instid1(VALU_DEP_1)
	v_mul_lo_u32 v0, v0, s6
	v_sub_nc_u32_e32 v0, v3, v0
	s_delay_alu instid0(VALU_DEP_1) | instskip(SKIP_1) | instid1(VALU_DEP_2)
	v_subrev_nc_u32_e32 v5, s6, v0
	v_cmp_le_u32_e32 vcc_lo, s6, v0
	v_cndmask_b32_e32 v0, v0, v5, vcc_lo
	s_delay_alu instid0(VALU_DEP_1) | instskip(SKIP_1) | instid1(VALU_DEP_2)
	v_subrev_nc_u32_e32 v5, s6, v0
	v_cmp_le_u32_e32 vcc_lo, s6, v0
	v_cndmask_b32_e32 v5, v0, v5, vcc_lo
.LBB50_9:
	s_or_b32 exec_lo, exec_lo, s2
	v_or_b32_e32 v7, s12, v2
	v_mov_b32_e32 v6, 0
	s_delay_alu instid0(VALU_DEP_1) | instskip(SKIP_1) | instid1(SALU_CYCLE_1)
	v_cmp_ne_u64_e32 vcc_lo, 0, v[6:7]
                                        ; implicit-def: $vgpr6_vgpr7
	s_and_saveexec_b32 s2, vcc_lo
	s_xor_b32 s10, exec_lo, s2
	s_cbranch_execz .LBB50_11
; %bb.10:
	s_ashr_i32 s4, s12, 31
	s_delay_alu instid0(SALU_CYCLE_1) | instskip(SKIP_2) | instid1(SALU_CYCLE_1)
	s_add_u32 s6, s3, s4
	s_mov_b32 s5, s4
	s_addc_u32 s7, s12, s4
	s_xor_b64 s[6:7], s[6:7], s[4:5]
	s_delay_alu instid0(SALU_CYCLE_1) | instskip(SKIP_3) | instid1(VALU_DEP_1)
	v_cvt_f32_u32_e32 v0, s6
	v_cvt_f32_u32_e32 v6, s7
	s_sub_u32 s2, 0, s6
	s_subb_u32 s5, 0, s7
	v_fmamk_f32 v0, v6, 0x4f800000, v0
	s_delay_alu instid0(VALU_DEP_1) | instskip(SKIP_2) | instid1(VALU_DEP_1)
	v_rcp_f32_e32 v0, v0
	s_waitcnt_depctr 0xfff
	v_mul_f32_e32 v0, 0x5f7ffffc, v0
	v_mul_f32_e32 v6, 0x2f800000, v0
	s_delay_alu instid0(VALU_DEP_1) | instskip(NEXT) | instid1(VALU_DEP_1)
	v_trunc_f32_e32 v6, v6
	v_fmamk_f32 v0, v6, 0xcf800000, v0
	v_cvt_u32_f32_e32 v6, v6
	s_delay_alu instid0(VALU_DEP_2) | instskip(NEXT) | instid1(VALU_DEP_2)
	v_cvt_u32_f32_e32 v0, v0
	v_mul_lo_u32 v7, s2, v6
	s_delay_alu instid0(VALU_DEP_2) | instskip(SKIP_1) | instid1(VALU_DEP_2)
	v_mul_hi_u32 v8, s2, v0
	v_mul_lo_u32 v9, s5, v0
	v_add_nc_u32_e32 v7, v8, v7
	v_mul_lo_u32 v8, s2, v0
	s_delay_alu instid0(VALU_DEP_2) | instskip(NEXT) | instid1(VALU_DEP_2)
	v_add_nc_u32_e32 v7, v7, v9
	v_mul_hi_u32 v9, v0, v8
	s_delay_alu instid0(VALU_DEP_2)
	v_mul_lo_u32 v10, v0, v7
	v_mul_hi_u32 v11, v0, v7
	v_mul_hi_u32 v12, v6, v8
	v_mul_lo_u32 v8, v6, v8
	v_mul_hi_u32 v13, v6, v7
	v_mul_lo_u32 v7, v6, v7
	v_add_co_u32 v9, vcc_lo, v9, v10
	v_add_co_ci_u32_e32 v10, vcc_lo, 0, v11, vcc_lo
	s_delay_alu instid0(VALU_DEP_2) | instskip(NEXT) | instid1(VALU_DEP_2)
	v_add_co_u32 v8, vcc_lo, v9, v8
	v_add_co_ci_u32_e32 v8, vcc_lo, v10, v12, vcc_lo
	v_add_co_ci_u32_e32 v9, vcc_lo, 0, v13, vcc_lo
	v_mov_b32_e32 v12, v2
	s_delay_alu instid0(VALU_DEP_3) | instskip(NEXT) | instid1(VALU_DEP_3)
	v_add_co_u32 v7, vcc_lo, v8, v7
	v_add_co_ci_u32_e32 v8, vcc_lo, 0, v9, vcc_lo
	v_mov_b32_e32 v13, v2
	s_delay_alu instid0(VALU_DEP_3) | instskip(NEXT) | instid1(VALU_DEP_3)
	v_add_co_u32 v0, vcc_lo, v0, v7
	v_add_co_ci_u32_e32 v6, vcc_lo, v6, v8, vcc_lo
	s_delay_alu instid0(VALU_DEP_2) | instskip(SKIP_1) | instid1(VALU_DEP_3)
	v_mul_hi_u32 v7, s2, v0
	v_mul_lo_u32 v9, s5, v0
	v_mul_lo_u32 v8, s2, v6
	s_delay_alu instid0(VALU_DEP_1) | instskip(SKIP_1) | instid1(VALU_DEP_2)
	v_add_nc_u32_e32 v7, v7, v8
	v_mul_lo_u32 v8, s2, v0
	v_add_nc_u32_e32 v7, v7, v9
	s_delay_alu instid0(VALU_DEP_2) | instskip(NEXT) | instid1(VALU_DEP_2)
	v_mul_hi_u32 v9, v0, v8
	v_mul_lo_u32 v10, v0, v7
	v_mul_hi_u32 v11, v0, v7
	v_mul_hi_u32 v14, v6, v8
	v_mul_lo_u32 v8, v6, v8
	v_mul_hi_u32 v15, v6, v7
	v_mul_lo_u32 v7, v6, v7
	v_add_co_u32 v9, vcc_lo, v9, v10
	v_add_co_ci_u32_e32 v10, vcc_lo, 0, v11, vcc_lo
	s_delay_alu instid0(VALU_DEP_2) | instskip(NEXT) | instid1(VALU_DEP_2)
	v_add_co_u32 v8, vcc_lo, v9, v8
	v_add_co_ci_u32_e32 v8, vcc_lo, v10, v14, vcc_lo
	v_add_co_ci_u32_e32 v9, vcc_lo, 0, v15, vcc_lo
	v_add_co_u32 v10, vcc_lo, v1, v12
	v_add_co_ci_u32_e32 v11, vcc_lo, v2, v13, vcc_lo
	s_delay_alu instid0(VALU_DEP_4) | instskip(NEXT) | instid1(VALU_DEP_4)
	v_add_co_u32 v7, vcc_lo, v8, v7
	v_add_co_ci_u32_e32 v8, vcc_lo, 0, v9, vcc_lo
	s_delay_alu instid0(VALU_DEP_4) | instskip(NEXT) | instid1(VALU_DEP_3)
	v_xor_b32_e32 v14, v10, v12
	v_add_co_u32 v0, vcc_lo, v0, v7
	s_delay_alu instid0(VALU_DEP_3) | instskip(SKIP_1) | instid1(VALU_DEP_3)
	v_add_co_ci_u32_e32 v15, vcc_lo, v6, v8, vcc_lo
	v_xor_b32_e32 v13, v11, v13
	v_mul_hi_u32 v16, v14, v0
	s_delay_alu instid0(VALU_DEP_3) | instskip(NEXT) | instid1(VALU_DEP_3)
	v_mad_u64_u32 v[6:7], null, v14, v15, 0
	v_mad_u64_u32 v[8:9], null, v13, v0, 0
	;; [unrolled: 1-line block ×3, first 2 shown]
	s_delay_alu instid0(VALU_DEP_3) | instskip(NEXT) | instid1(VALU_DEP_4)
	v_add_co_u32 v0, vcc_lo, v16, v6
	v_add_co_ci_u32_e32 v6, vcc_lo, 0, v7, vcc_lo
	s_delay_alu instid0(VALU_DEP_2) | instskip(NEXT) | instid1(VALU_DEP_2)
	v_add_co_u32 v0, vcc_lo, v0, v8
	v_add_co_ci_u32_e32 v0, vcc_lo, v6, v9, vcc_lo
	v_add_co_ci_u32_e32 v6, vcc_lo, 0, v11, vcc_lo
	s_delay_alu instid0(VALU_DEP_2) | instskip(NEXT) | instid1(VALU_DEP_2)
	v_add_co_u32 v0, vcc_lo, v0, v10
	v_add_co_ci_u32_e32 v8, vcc_lo, 0, v6, vcc_lo
	s_delay_alu instid0(VALU_DEP_2) | instskip(SKIP_1) | instid1(VALU_DEP_3)
	v_mul_lo_u32 v9, s7, v0
	v_mad_u64_u32 v[6:7], null, s6, v0, 0
	v_mul_lo_u32 v8, s6, v8
	s_delay_alu instid0(VALU_DEP_2) | instskip(NEXT) | instid1(VALU_DEP_2)
	v_sub_co_u32 v6, vcc_lo, v14, v6
	v_add3_u32 v7, v7, v8, v9
	v_add_co_u32 v9, s2, v0, 2
	s_delay_alu instid0(VALU_DEP_2) | instskip(NEXT) | instid1(VALU_DEP_1)
	v_sub_nc_u32_e32 v8, v13, v7
	v_subrev_co_ci_u32_e64 v8, s2, s7, v8, vcc_lo
	v_sub_co_u32 v10, s2, v6, s6
	v_sub_co_ci_u32_e32 v7, vcc_lo, v13, v7, vcc_lo
	s_delay_alu instid0(VALU_DEP_3) | instskip(NEXT) | instid1(VALU_DEP_3)
	v_subrev_co_ci_u32_e64 v8, s2, 0, v8, s2
	v_cmp_le_u32_e32 vcc_lo, s6, v10
	v_cndmask_b32_e64 v10, 0, -1, vcc_lo
	s_delay_alu instid0(VALU_DEP_3)
	v_cmp_le_u32_e32 vcc_lo, s7, v8
	v_cndmask_b32_e64 v11, 0, -1, vcc_lo
	v_cmp_le_u32_e32 vcc_lo, s6, v6
	v_cndmask_b32_e64 v6, 0, -1, vcc_lo
	;; [unrolled: 2-line block ×3, first 2 shown]
	v_cmp_eq_u32_e32 vcc_lo, s7, v8
	v_cndmask_b32_e32 v8, v11, v10, vcc_lo
	v_add_co_u32 v10, vcc_lo, v0, 1
	v_cmp_eq_u32_e32 vcc_lo, s7, v7
	v_cndmask_b32_e32 v6, v13, v6, vcc_lo
	s_delay_alu instid0(VALU_DEP_4) | instskip(NEXT) | instid1(VALU_DEP_4)
	v_cmp_ne_u32_e32 vcc_lo, 0, v8
	v_cndmask_b32_e32 v7, v10, v9, vcc_lo
	s_delay_alu instid0(VALU_DEP_3) | instskip(SKIP_1) | instid1(VALU_DEP_3)
	v_cmp_ne_u32_e32 vcc_lo, 0, v6
	v_xor_b32_e32 v6, s4, v12
	v_cndmask_b32_e32 v0, v0, v7, vcc_lo
	s_delay_alu instid0(VALU_DEP_1) | instskip(NEXT) | instid1(VALU_DEP_1)
	v_xor_b32_e32 v0, v0, v6
	v_sub_co_u32 v6, vcc_lo, v0, v6
.LBB50_11:
	s_and_not1_saveexec_b32 s2, s10
	s_cbranch_execz .LBB50_13
; %bb.12:
	v_cvt_f32_u32_e32 v0, s3
	s_sub_i32 s4, 0, s3
	s_delay_alu instid0(VALU_DEP_1) | instskip(SKIP_2) | instid1(VALU_DEP_1)
	v_rcp_iflag_f32_e32 v0, v0
	s_waitcnt_depctr 0xfff
	v_mul_f32_e32 v0, 0x4f7ffffe, v0
	v_cvt_u32_f32_e32 v0, v0
	s_delay_alu instid0(VALU_DEP_1) | instskip(NEXT) | instid1(VALU_DEP_1)
	v_mul_lo_u32 v6, s4, v0
	v_mul_hi_u32 v6, v0, v6
	s_delay_alu instid0(VALU_DEP_1) | instskip(NEXT) | instid1(VALU_DEP_1)
	v_add_nc_u32_e32 v0, v0, v6
	v_mul_hi_u32 v0, v1, v0
	s_delay_alu instid0(VALU_DEP_1) | instskip(SKIP_1) | instid1(VALU_DEP_2)
	v_mul_lo_u32 v6, v0, s3
	v_add_nc_u32_e32 v7, 1, v0
	v_sub_nc_u32_e32 v6, v1, v6
	s_delay_alu instid0(VALU_DEP_1) | instskip(SKIP_1) | instid1(VALU_DEP_2)
	v_subrev_nc_u32_e32 v8, s3, v6
	v_cmp_le_u32_e32 vcc_lo, s3, v6
	v_cndmask_b32_e32 v6, v6, v8, vcc_lo
	v_cndmask_b32_e32 v0, v0, v7, vcc_lo
	s_delay_alu instid0(VALU_DEP_2) | instskip(NEXT) | instid1(VALU_DEP_2)
	v_cmp_le_u32_e32 vcc_lo, s3, v6
	v_add_nc_u32_e32 v7, 1, v0
	s_delay_alu instid0(VALU_DEP_1)
	v_cndmask_b32_e32 v6, v0, v7, vcc_lo
.LBB50_13:
	s_or_b32 exec_lo, exec_lo, s2
	s_clause 0x2
	s_load_b32 s10, s[0:1], 0xc0
	s_load_b128 s[4:7], s[0:1], 0xb0
	s_load_b512 s[16:31], s[0:1], 0x18
	v_mul_lo_u32 v0, v4, s8
	v_mul_lo_u32 v4, v3, s9
	v_mad_u64_u32 v[7:8], null, v3, s8, 0
	s_load_b64 s[2:3], s[0:1], 0xa8
	s_delay_alu instid0(VALU_DEP_1) | instskip(NEXT) | instid1(VALU_DEP_2)
	v_add3_u32 v0, v8, v4, v0
	v_sub_co_u32 v9, vcc_lo, v1, v7
	s_delay_alu instid0(VALU_DEP_2)
	v_sub_co_ci_u32_e32 v4, vcc_lo, v2, v0, vcc_lo
	s_waitcnt lgkmcnt(0)
	s_add_i32 s15, s15, s10
	s_add_i32 s14, s14, s7
	;; [unrolled: 1-line block ×3, first 2 shown]
	s_sub_i32 s7, 0, s6
	s_add_i32 s18, s18, -1
	s_sub_i32 s8, 0, s5
	s_add_i32 s19, s6, s20
	s_max_i32 s11, s5, 0
	v_maxmin_i32 v1, s5, v5, s18
	s_add_i32 s5, s4, s16
	s_max_i32 s10, s6, 0
	s_max_i32 s7, s7, 0
	;; [unrolled: 1-line block ×3, first 2 shown]
	s_add_i32 s19, s19, -1
	s_add_i32 s5, s5, -1
	s_sub_i32 s9, 0, s4
	v_maxmin_i32 v0, s6, v9, s19
	s_sub_i32 s6, s7, s10
	s_sub_i32 s7, s12, s11
	s_ashr_i32 s12, s15, 31
	v_maxmin_i32 v2, s4, v6, s5
	s_max_i32 s13, s9, 0
	s_max_i32 s17, s4, 0
	s_load_b64 s[8:9], s[0:1], 0x0
	s_mul_i32 s10, s22, s12
	s_mul_hi_u32 s11, s22, s15
	v_add_nc_u32_e32 v7, s7, v1
	s_add_i32 s4, s11, s10
	s_sub_i32 s10, s13, s17
	s_mul_i32 s5, s23, s15
	v_add_nc_u32_e32 v2, s10, v2
	v_add_nc_u32_e32 v10, s6, v0
	v_ashrrev_i32_e32 v3, 31, v7
	s_add_i32 s5, s4, s5
	s_mul_i32 s4, s22, s15
	v_ashrrev_i32_e32 v1, 31, v2
	v_mul_lo_u32 v11, s27, v2
	s_lshl_b64 s[4:5], s[4:5], 1
	v_mul_lo_u32 v12, s28, v3
	v_mul_lo_u32 v13, s29, v7
	;; [unrolled: 1-line block ×3, first 2 shown]
	v_mad_u64_u32 v[0:1], null, s26, v2, 0
	v_ashrrev_i32_e32 v14, 31, v10
	v_mad_u64_u32 v[2:3], null, s28, v7, 0
	s_waitcnt lgkmcnt(0)
	s_add_u32 s7, s8, s4
	s_addc_u32 s8, s9, s5
	s_ashr_i32 s13, s14, 31
	s_delay_alu instid0(VALU_DEP_3)
	v_add3_u32 v1, v1, v8, v11
	s_mul_i32 s4, s24, s13
	s_mul_hi_u32 s5, s24, s14
	v_mul_lo_u32 v11, s30, v14
	v_mul_lo_u32 v14, s31, v10
	v_mad_u64_u32 v[7:8], null, s30, v10, 0
	s_add_i32 s4, s5, s4
	s_mul_i32 s5, s25, s14
	v_add3_u32 v3, v3, v12, v13
	s_add_i32 s5, s4, s5
	s_mul_i32 s4, s24, s14
	v_lshlrev_b64 v[0:1], 1, v[0:1]
	s_lshl_b64 s[4:5], s[4:5], 1
	v_lshlrev_b64 v[2:3], 1, v[2:3]
	s_add_u32 s4, s7, s4
	v_add3_u32 v8, v8, v11, v14
	s_addc_u32 s5, s8, s5
	v_add_co_u32 v10, vcc_lo, s4, v0
	v_add_co_ci_u32_e32 v11, vcc_lo, s5, v1, vcc_lo
	s_delay_alu instid0(VALU_DEP_3) | instskip(NEXT) | instid1(VALU_DEP_3)
	v_lshlrev_b64 v[0:1], 1, v[7:8]
	v_add_co_u32 v2, vcc_lo, v10, v2
	s_delay_alu instid0(VALU_DEP_3) | instskip(NEXT) | instid1(VALU_DEP_2)
	v_add_co_ci_u32_e32 v3, vcc_lo, v11, v3, vcc_lo
	v_add_co_u32 v0, vcc_lo, v2, v0
	s_delay_alu instid0(VALU_DEP_2)
	v_add_co_ci_u32_e32 v1, vcc_lo, v3, v1, vcc_lo
	v_ashrrev_i32_e32 v2, 31, v5
	global_load_u16 v7, v[0:1], off
	s_clause 0x1
	s_load_b256 s[4:11], s[0:1], 0x88
	s_load_b64 s[0:1], s[0:1], 0x58
	v_ashrrev_i32_e32 v0, 31, v6
	s_waitcnt lgkmcnt(0)
	s_mul_i32 s12, s4, s12
	s_mul_hi_u32 s16, s4, s15
	v_mul_lo_u32 v8, s9, v6
	v_mul_lo_u32 v10, s8, v0
	v_mad_u64_u32 v[0:1], null, s8, v6, 0
	s_add_i32 s12, s16, s12
	s_mul_i32 s5, s5, s15
	s_mul_i32 s4, s4, s15
	s_add_i32 s5, s12, s5
	v_mul_lo_u32 v6, s11, v5
	v_mul_lo_u32 v11, s10, v2
	v_mad_u64_u32 v[2:3], null, s10, v5, 0
	s_lshl_b64 s[4:5], s[4:5], 1
	v_add3_u32 v1, v1, v10, v8
	s_add_u32 s4, s0, s4
	s_addc_u32 s5, s1, s5
	s_mul_i32 s0, s6, s13
	s_mul_hi_u32 s1, s6, s14
	v_mul_lo_u32 v8, s3, v9
	v_mul_lo_u32 v10, s2, v4
	v_mad_u64_u32 v[4:5], null, s2, v9, 0
	s_add_i32 s0, s1, s0
	s_mul_i32 s1, s7, s14
	v_add3_u32 v3, v3, v11, v6
	s_add_i32 s1, s0, s1
	s_mul_i32 s0, s6, s14
	v_lshlrev_b64 v[0:1], 1, v[0:1]
	s_lshl_b64 s[0:1], s[0:1], 1
	v_lshlrev_b64 v[2:3], 1, v[2:3]
	s_add_u32 s0, s4, s0
	v_add3_u32 v5, v5, v10, v8
	s_addc_u32 s1, s5, s1
	v_add_co_u32 v6, vcc_lo, s0, v0
	v_add_co_ci_u32_e32 v8, vcc_lo, s1, v1, vcc_lo
	s_delay_alu instid0(VALU_DEP_3) | instskip(NEXT) | instid1(VALU_DEP_3)
	v_lshlrev_b64 v[0:1], 1, v[4:5]
	v_add_co_u32 v2, vcc_lo, v6, v2
	s_delay_alu instid0(VALU_DEP_3) | instskip(NEXT) | instid1(VALU_DEP_2)
	v_add_co_ci_u32_e32 v3, vcc_lo, v8, v3, vcc_lo
	v_add_co_u32 v0, vcc_lo, v2, v0
	s_delay_alu instid0(VALU_DEP_2)
	v_add_co_ci_u32_e32 v1, vcc_lo, v3, v1, vcc_lo
	s_waitcnt vmcnt(0)
	global_store_b16 v[0:1], v7, off
.LBB50_14:
	s_nop 0
	s_sendmsg sendmsg(MSG_DEALLOC_VGPRS)
	s_endpgm
	.section	.rodata,"a",@progbits
	.p2align	6, 0x0
	.amdhsa_kernel _ZN2at6native12_GLOBAL__N_132replication_pad_forward_kernel3dIN3c108BFloat16EEEvN5torch10headeronly6detail27GenericPackedTensorAccessorINS7_14TensorAccessorINS3_8ArrayRefIlEEKT_Lm4ENS6_16DefaultPtrTraitsElEENS_6detail16IndexBoundsCheckILm5ElEESD_Lm5ESE_lEENS8_INS9_ISB_SC_Lm4ESE_lEESI_SC_Lm5ESE_lEEiiiii
		.amdhsa_group_segment_fixed_size 0
		.amdhsa_private_segment_fixed_size 0
		.amdhsa_kernarg_size 456
		.amdhsa_user_sgpr_count 13
		.amdhsa_user_sgpr_dispatch_ptr 0
		.amdhsa_user_sgpr_queue_ptr 0
		.amdhsa_user_sgpr_kernarg_segment_ptr 1
		.amdhsa_user_sgpr_dispatch_id 0
		.amdhsa_user_sgpr_private_segment_size 0
		.amdhsa_wavefront_size32 1
		.amdhsa_uses_dynamic_stack 0
		.amdhsa_enable_private_segment 0
		.amdhsa_system_sgpr_workgroup_id_x 1
		.amdhsa_system_sgpr_workgroup_id_y 1
		.amdhsa_system_sgpr_workgroup_id_z 1
		.amdhsa_system_sgpr_workgroup_info 0
		.amdhsa_system_vgpr_workitem_id 0
		.amdhsa_next_free_vgpr 17
		.amdhsa_next_free_sgpr 32
		.amdhsa_reserve_vcc 1
		.amdhsa_float_round_mode_32 0
		.amdhsa_float_round_mode_16_64 0
		.amdhsa_float_denorm_mode_32 3
		.amdhsa_float_denorm_mode_16_64 3
		.amdhsa_dx10_clamp 1
		.amdhsa_ieee_mode 1
		.amdhsa_fp16_overflow 0
		.amdhsa_workgroup_processor_mode 1
		.amdhsa_memory_ordered 1
		.amdhsa_forward_progress 0
		.amdhsa_shared_vgpr_count 0
		.amdhsa_exception_fp_ieee_invalid_op 0
		.amdhsa_exception_fp_denorm_src 0
		.amdhsa_exception_fp_ieee_div_zero 0
		.amdhsa_exception_fp_ieee_overflow 0
		.amdhsa_exception_fp_ieee_underflow 0
		.amdhsa_exception_fp_ieee_inexact 0
		.amdhsa_exception_int_div_zero 0
	.end_amdhsa_kernel
	.section	.text._ZN2at6native12_GLOBAL__N_132replication_pad_forward_kernel3dIN3c108BFloat16EEEvN5torch10headeronly6detail27GenericPackedTensorAccessorINS7_14TensorAccessorINS3_8ArrayRefIlEEKT_Lm4ENS6_16DefaultPtrTraitsElEENS_6detail16IndexBoundsCheckILm5ElEESD_Lm5ESE_lEENS8_INS9_ISB_SC_Lm4ESE_lEESI_SC_Lm5ESE_lEEiiiii,"axG",@progbits,_ZN2at6native12_GLOBAL__N_132replication_pad_forward_kernel3dIN3c108BFloat16EEEvN5torch10headeronly6detail27GenericPackedTensorAccessorINS7_14TensorAccessorINS3_8ArrayRefIlEEKT_Lm4ENS6_16DefaultPtrTraitsElEENS_6detail16IndexBoundsCheckILm5ElEESD_Lm5ESE_lEENS8_INS9_ISB_SC_Lm4ESE_lEESI_SC_Lm5ESE_lEEiiiii,comdat
.Lfunc_end50:
	.size	_ZN2at6native12_GLOBAL__N_132replication_pad_forward_kernel3dIN3c108BFloat16EEEvN5torch10headeronly6detail27GenericPackedTensorAccessorINS7_14TensorAccessorINS3_8ArrayRefIlEEKT_Lm4ENS6_16DefaultPtrTraitsElEENS_6detail16IndexBoundsCheckILm5ElEESD_Lm5ESE_lEENS8_INS9_ISB_SC_Lm4ESE_lEESI_SC_Lm5ESE_lEEiiiii, .Lfunc_end50-_ZN2at6native12_GLOBAL__N_132replication_pad_forward_kernel3dIN3c108BFloat16EEEvN5torch10headeronly6detail27GenericPackedTensorAccessorINS7_14TensorAccessorINS3_8ArrayRefIlEEKT_Lm4ENS6_16DefaultPtrTraitsElEENS_6detail16IndexBoundsCheckILm5ElEESD_Lm5ESE_lEENS8_INS9_ISB_SC_Lm4ESE_lEESI_SC_Lm5ESE_lEEiiiii
                                        ; -- End function
	.section	.AMDGPU.csdata,"",@progbits
; Kernel info:
; codeLenInByte = 3796
; NumSgprs: 34
; NumVgprs: 17
; ScratchSize: 0
; MemoryBound: 0
; FloatMode: 240
; IeeeMode: 1
; LDSByteSize: 0 bytes/workgroup (compile time only)
; SGPRBlocks: 4
; VGPRBlocks: 2
; NumSGPRsForWavesPerEU: 34
; NumVGPRsForWavesPerEU: 17
; Occupancy: 16
; WaveLimiterHint : 1
; COMPUTE_PGM_RSRC2:SCRATCH_EN: 0
; COMPUTE_PGM_RSRC2:USER_SGPR: 13
; COMPUTE_PGM_RSRC2:TRAP_HANDLER: 0
; COMPUTE_PGM_RSRC2:TGID_X_EN: 1
; COMPUTE_PGM_RSRC2:TGID_Y_EN: 1
; COMPUTE_PGM_RSRC2:TGID_Z_EN: 1
; COMPUTE_PGM_RSRC2:TIDIG_COMP_CNT: 0
	.text
	.p2alignl 7, 3214868480
	.fill 96, 4, 3214868480
	.type	__hip_cuid_a6129d00c4ac4383,@object ; @__hip_cuid_a6129d00c4ac4383
	.section	.bss,"aw",@nobits
	.globl	__hip_cuid_a6129d00c4ac4383
__hip_cuid_a6129d00c4ac4383:
	.byte	0                               ; 0x0
	.size	__hip_cuid_a6129d00c4ac4383, 1

	.ident	"AMD clang version 19.0.0git (https://github.com/RadeonOpenCompute/llvm-project roc-6.4.0 25133 c7fe45cf4b819c5991fe208aaa96edf142730f1d)"
	.section	".note.GNU-stack","",@progbits
	.addrsig
	.addrsig_sym __hip_cuid_a6129d00c4ac4383
	.amdgpu_metadata
---
amdhsa.kernels:
  - .args:
      - .offset:         0
        .size:           72
        .value_kind:     by_value
      - .offset:         72
        .size:           72
        .value_kind:     by_value
      - .offset:         144
        .size:           4
        .value_kind:     by_value
      - .offset:         148
        .size:           4
        .value_kind:     by_value
      - .offset:         152
        .size:           4
        .value_kind:     by_value
      - .offset:         156
        .size:           4
        .value_kind:     by_value
      - .offset:         160
        .size:           4
        .value_kind:     hidden_block_count_x
      - .offset:         164
        .size:           4
        .value_kind:     hidden_block_count_y
      - .offset:         168
        .size:           4
        .value_kind:     hidden_block_count_z
      - .offset:         172
        .size:           2
        .value_kind:     hidden_group_size_x
      - .offset:         174
        .size:           2
        .value_kind:     hidden_group_size_y
      - .offset:         176
        .size:           2
        .value_kind:     hidden_group_size_z
      - .offset:         178
        .size:           2
        .value_kind:     hidden_remainder_x
      - .offset:         180
        .size:           2
        .value_kind:     hidden_remainder_y
      - .offset:         182
        .size:           2
        .value_kind:     hidden_remainder_z
      - .offset:         200
        .size:           8
        .value_kind:     hidden_global_offset_x
      - .offset:         208
        .size:           8
        .value_kind:     hidden_global_offset_y
      - .offset:         216
        .size:           8
        .value_kind:     hidden_global_offset_z
      - .offset:         224
        .size:           2
        .value_kind:     hidden_grid_dims
    .group_segment_fixed_size: 0
    .kernarg_segment_align: 8
    .kernarg_segment_size: 416
    .language:       OpenCL C
    .language_version:
      - 2
      - 0
    .max_flat_workgroup_size: 1024
    .name:           _ZN2at6native12_GLOBAL__N_131replication_pad_backward_kernelIdEEvN5torch10headeronly6detail27GenericPackedTensorAccessorINS5_14TensorAccessorIN3c108ArrayRefIlEET_Lm3ENS4_16DefaultPtrTraitsElEENS_6detail16IndexBoundsCheckILm4ElEESB_Lm4ESC_lEENS6_INS7_ISA_KSB_Lm3ESC_lEESG_SI_Lm4ESC_lEEiiii
    .private_segment_fixed_size: 0
    .sgpr_count:     33
    .sgpr_spill_count: 0
    .symbol:         _ZN2at6native12_GLOBAL__N_131replication_pad_backward_kernelIdEEvN5torch10headeronly6detail27GenericPackedTensorAccessorINS5_14TensorAccessorIN3c108ArrayRefIlEET_Lm3ENS4_16DefaultPtrTraitsElEENS_6detail16IndexBoundsCheckILm4ElEESB_Lm4ESC_lEENS6_INS7_ISA_KSB_Lm3ESC_lEESG_SI_Lm4ESC_lEEiiii.kd
    .uniform_work_group_size: 1
    .uses_dynamic_stack: false
    .vgpr_count:     14
    .vgpr_spill_count: 0
    .wavefront_size: 32
    .workgroup_processor_mode: 1
  - .args:
      - .offset:         0
        .size:           72
        .value_kind:     by_value
      - .offset:         72
        .size:           72
        .value_kind:     by_value
      - .offset:         144
        .size:           4
        .value_kind:     by_value
      - .offset:         148
        .size:           4
        .value_kind:     by_value
      - .offset:         152
        .size:           4
        .value_kind:     by_value
      - .offset:         156
        .size:           4
        .value_kind:     by_value
      - .offset:         160
        .size:           4
        .value_kind:     hidden_block_count_x
      - .offset:         164
        .size:           4
        .value_kind:     hidden_block_count_y
      - .offset:         168
        .size:           4
        .value_kind:     hidden_block_count_z
      - .offset:         172
        .size:           2
        .value_kind:     hidden_group_size_x
      - .offset:         174
        .size:           2
        .value_kind:     hidden_group_size_y
      - .offset:         176
        .size:           2
        .value_kind:     hidden_group_size_z
      - .offset:         178
        .size:           2
        .value_kind:     hidden_remainder_x
      - .offset:         180
        .size:           2
        .value_kind:     hidden_remainder_y
      - .offset:         182
        .size:           2
        .value_kind:     hidden_remainder_z
      - .offset:         200
        .size:           8
        .value_kind:     hidden_global_offset_x
      - .offset:         208
        .size:           8
        .value_kind:     hidden_global_offset_y
      - .offset:         216
        .size:           8
        .value_kind:     hidden_global_offset_z
      - .offset:         224
        .size:           2
        .value_kind:     hidden_grid_dims
    .group_segment_fixed_size: 0
    .kernarg_segment_align: 8
    .kernarg_segment_size: 416
    .language:       OpenCL C
    .language_version:
      - 2
      - 0
    .max_flat_workgroup_size: 1024
    .name:           _ZN2at6native12_GLOBAL__N_131replication_pad_backward_kernelIfEEvN5torch10headeronly6detail27GenericPackedTensorAccessorINS5_14TensorAccessorIN3c108ArrayRefIlEET_Lm3ENS4_16DefaultPtrTraitsElEENS_6detail16IndexBoundsCheckILm4ElEESB_Lm4ESC_lEENS6_INS7_ISA_KSB_Lm3ESC_lEESG_SI_Lm4ESC_lEEiiii
    .private_segment_fixed_size: 0
    .sgpr_count:     33
    .sgpr_spill_count: 0
    .symbol:         _ZN2at6native12_GLOBAL__N_131replication_pad_backward_kernelIfEEvN5torch10headeronly6detail27GenericPackedTensorAccessorINS5_14TensorAccessorIN3c108ArrayRefIlEET_Lm3ENS4_16DefaultPtrTraitsElEENS_6detail16IndexBoundsCheckILm4ElEESB_Lm4ESC_lEENS6_INS7_ISA_KSB_Lm3ESC_lEESG_SI_Lm4ESC_lEEiiii.kd
    .uniform_work_group_size: 1
    .uses_dynamic_stack: false
    .vgpr_count:     14
    .vgpr_spill_count: 0
    .wavefront_size: 32
    .workgroup_processor_mode: 1
  - .args:
      - .offset:         0
        .size:           72
        .value_kind:     by_value
      - .offset:         72
        .size:           72
        .value_kind:     by_value
      - .offset:         144
        .size:           4
        .value_kind:     by_value
      - .offset:         148
        .size:           4
        .value_kind:     by_value
      - .offset:         152
        .size:           4
        .value_kind:     by_value
      - .offset:         156
        .size:           4
        .value_kind:     by_value
      - .offset:         160
        .size:           4
        .value_kind:     hidden_block_count_x
      - .offset:         164
        .size:           4
        .value_kind:     hidden_block_count_y
      - .offset:         168
        .size:           4
        .value_kind:     hidden_block_count_z
      - .offset:         172
        .size:           2
        .value_kind:     hidden_group_size_x
      - .offset:         174
        .size:           2
        .value_kind:     hidden_group_size_y
      - .offset:         176
        .size:           2
        .value_kind:     hidden_group_size_z
      - .offset:         178
        .size:           2
        .value_kind:     hidden_remainder_x
      - .offset:         180
        .size:           2
        .value_kind:     hidden_remainder_y
      - .offset:         182
        .size:           2
        .value_kind:     hidden_remainder_z
      - .offset:         200
        .size:           8
        .value_kind:     hidden_global_offset_x
      - .offset:         208
        .size:           8
        .value_kind:     hidden_global_offset_y
      - .offset:         216
        .size:           8
        .value_kind:     hidden_global_offset_z
      - .offset:         224
        .size:           2
        .value_kind:     hidden_grid_dims
    .group_segment_fixed_size: 0
    .kernarg_segment_align: 8
    .kernarg_segment_size: 416
    .language:       OpenCL C
    .language_version:
      - 2
      - 0
    .max_flat_workgroup_size: 1024
    .name:           _ZN2at6native12_GLOBAL__N_131replication_pad_backward_kernelIN3c107complexIdEEEEvN5torch10headeronly6detail27GenericPackedTensorAccessorINS8_14TensorAccessorINS3_8ArrayRefIlEET_Lm3ENS7_16DefaultPtrTraitsElEENS_6detail16IndexBoundsCheckILm4ElEESD_Lm4ESE_lEENS9_INSA_ISC_KSD_Lm3ESE_lEESI_SK_Lm4ESE_lEEiiii
    .private_segment_fixed_size: 0
    .sgpr_count:     33
    .sgpr_spill_count: 0
    .symbol:         _ZN2at6native12_GLOBAL__N_131replication_pad_backward_kernelIN3c107complexIdEEEEvN5torch10headeronly6detail27GenericPackedTensorAccessorINS8_14TensorAccessorINS3_8ArrayRefIlEET_Lm3ENS7_16DefaultPtrTraitsElEENS_6detail16IndexBoundsCheckILm4ElEESD_Lm4ESE_lEENS9_INSA_ISC_KSD_Lm3ESE_lEESI_SK_Lm4ESE_lEEiiii.kd
    .uniform_work_group_size: 1
    .uses_dynamic_stack: false
    .vgpr_count:     14
    .vgpr_spill_count: 0
    .wavefront_size: 32
    .workgroup_processor_mode: 1
  - .args:
      - .offset:         0
        .size:           72
        .value_kind:     by_value
      - .offset:         72
        .size:           72
        .value_kind:     by_value
      - .offset:         144
        .size:           4
        .value_kind:     by_value
      - .offset:         148
        .size:           4
        .value_kind:     by_value
      - .offset:         152
        .size:           4
        .value_kind:     by_value
      - .offset:         156
        .size:           4
        .value_kind:     by_value
      - .offset:         160
        .size:           4
        .value_kind:     hidden_block_count_x
      - .offset:         164
        .size:           4
        .value_kind:     hidden_block_count_y
      - .offset:         168
        .size:           4
        .value_kind:     hidden_block_count_z
      - .offset:         172
        .size:           2
        .value_kind:     hidden_group_size_x
      - .offset:         174
        .size:           2
        .value_kind:     hidden_group_size_y
      - .offset:         176
        .size:           2
        .value_kind:     hidden_group_size_z
      - .offset:         178
        .size:           2
        .value_kind:     hidden_remainder_x
      - .offset:         180
        .size:           2
        .value_kind:     hidden_remainder_y
      - .offset:         182
        .size:           2
        .value_kind:     hidden_remainder_z
      - .offset:         200
        .size:           8
        .value_kind:     hidden_global_offset_x
      - .offset:         208
        .size:           8
        .value_kind:     hidden_global_offset_y
      - .offset:         216
        .size:           8
        .value_kind:     hidden_global_offset_z
      - .offset:         224
        .size:           2
        .value_kind:     hidden_grid_dims
    .group_segment_fixed_size: 0
    .kernarg_segment_align: 8
    .kernarg_segment_size: 416
    .language:       OpenCL C
    .language_version:
      - 2
      - 0
    .max_flat_workgroup_size: 1024
    .name:           _ZN2at6native12_GLOBAL__N_131replication_pad_backward_kernelIN3c107complexIfEEEEvN5torch10headeronly6detail27GenericPackedTensorAccessorINS8_14TensorAccessorINS3_8ArrayRefIlEET_Lm3ENS7_16DefaultPtrTraitsElEENS_6detail16IndexBoundsCheckILm4ElEESD_Lm4ESE_lEENS9_INSA_ISC_KSD_Lm3ESE_lEESI_SK_Lm4ESE_lEEiiii
    .private_segment_fixed_size: 0
    .sgpr_count:     33
    .sgpr_spill_count: 0
    .symbol:         _ZN2at6native12_GLOBAL__N_131replication_pad_backward_kernelIN3c107complexIfEEEEvN5torch10headeronly6detail27GenericPackedTensorAccessorINS8_14TensorAccessorINS3_8ArrayRefIlEET_Lm3ENS7_16DefaultPtrTraitsElEENS_6detail16IndexBoundsCheckILm4ElEESD_Lm4ESE_lEENS9_INSA_ISC_KSD_Lm3ESE_lEESI_SK_Lm4ESE_lEEiiii.kd
    .uniform_work_group_size: 1
    .uses_dynamic_stack: false
    .vgpr_count:     14
    .vgpr_spill_count: 0
    .wavefront_size: 32
    .workgroup_processor_mode: 1
  - .args:
      - .offset:         0
        .size:           72
        .value_kind:     by_value
      - .offset:         72
        .size:           72
        .value_kind:     by_value
      - .offset:         144
        .size:           4
        .value_kind:     by_value
      - .offset:         148
        .size:           4
        .value_kind:     by_value
      - .offset:         152
        .size:           4
        .value_kind:     by_value
      - .offset:         156
        .size:           4
        .value_kind:     by_value
      - .offset:         160
        .size:           4
        .value_kind:     hidden_block_count_x
      - .offset:         164
        .size:           4
        .value_kind:     hidden_block_count_y
      - .offset:         168
        .size:           4
        .value_kind:     hidden_block_count_z
      - .offset:         172
        .size:           2
        .value_kind:     hidden_group_size_x
      - .offset:         174
        .size:           2
        .value_kind:     hidden_group_size_y
      - .offset:         176
        .size:           2
        .value_kind:     hidden_group_size_z
      - .offset:         178
        .size:           2
        .value_kind:     hidden_remainder_x
      - .offset:         180
        .size:           2
        .value_kind:     hidden_remainder_y
      - .offset:         182
        .size:           2
        .value_kind:     hidden_remainder_z
      - .offset:         200
        .size:           8
        .value_kind:     hidden_global_offset_x
      - .offset:         208
        .size:           8
        .value_kind:     hidden_global_offset_y
      - .offset:         216
        .size:           8
        .value_kind:     hidden_global_offset_z
      - .offset:         224
        .size:           2
        .value_kind:     hidden_grid_dims
    .group_segment_fixed_size: 0
    .kernarg_segment_align: 8
    .kernarg_segment_size: 416
    .language:       OpenCL C
    .language_version:
      - 2
      - 0
    .max_flat_workgroup_size: 1024
    .name:           _ZN2at6native12_GLOBAL__N_131replication_pad_backward_kernelIN3c104HalfEEEvN5torch10headeronly6detail27GenericPackedTensorAccessorINS7_14TensorAccessorINS3_8ArrayRefIlEET_Lm3ENS6_16DefaultPtrTraitsElEENS_6detail16IndexBoundsCheckILm4ElEESC_Lm4ESD_lEENS8_INS9_ISB_KSC_Lm3ESD_lEESH_SJ_Lm4ESD_lEEiiii
    .private_segment_fixed_size: 0
    .sgpr_count:     36
    .sgpr_spill_count: 0
    .symbol:         _ZN2at6native12_GLOBAL__N_131replication_pad_backward_kernelIN3c104HalfEEEvN5torch10headeronly6detail27GenericPackedTensorAccessorINS7_14TensorAccessorINS3_8ArrayRefIlEET_Lm3ENS6_16DefaultPtrTraitsElEENS_6detail16IndexBoundsCheckILm4ElEESC_Lm4ESD_lEENS8_INS9_ISB_KSC_Lm3ESD_lEESH_SJ_Lm4ESD_lEEiiii.kd
    .uniform_work_group_size: 1
    .uses_dynamic_stack: false
    .vgpr_count:     15
    .vgpr_spill_count: 0
    .wavefront_size: 32
    .workgroup_processor_mode: 1
  - .args:
      - .offset:         0
        .size:           72
        .value_kind:     by_value
      - .offset:         72
        .size:           72
        .value_kind:     by_value
      - .offset:         144
        .size:           4
        .value_kind:     by_value
      - .offset:         148
        .size:           4
        .value_kind:     by_value
      - .offset:         152
        .size:           4
        .value_kind:     by_value
      - .offset:         156
        .size:           4
        .value_kind:     by_value
      - .offset:         160
        .size:           4
        .value_kind:     hidden_block_count_x
      - .offset:         164
        .size:           4
        .value_kind:     hidden_block_count_y
      - .offset:         168
        .size:           4
        .value_kind:     hidden_block_count_z
      - .offset:         172
        .size:           2
        .value_kind:     hidden_group_size_x
      - .offset:         174
        .size:           2
        .value_kind:     hidden_group_size_y
      - .offset:         176
        .size:           2
        .value_kind:     hidden_group_size_z
      - .offset:         178
        .size:           2
        .value_kind:     hidden_remainder_x
      - .offset:         180
        .size:           2
        .value_kind:     hidden_remainder_y
      - .offset:         182
        .size:           2
        .value_kind:     hidden_remainder_z
      - .offset:         200
        .size:           8
        .value_kind:     hidden_global_offset_x
      - .offset:         208
        .size:           8
        .value_kind:     hidden_global_offset_y
      - .offset:         216
        .size:           8
        .value_kind:     hidden_global_offset_z
      - .offset:         224
        .size:           2
        .value_kind:     hidden_grid_dims
    .group_segment_fixed_size: 0
    .kernarg_segment_align: 8
    .kernarg_segment_size: 416
    .language:       OpenCL C
    .language_version:
      - 2
      - 0
    .max_flat_workgroup_size: 1024
    .name:           _ZN2at6native12_GLOBAL__N_131replication_pad_backward_kernelIN3c108BFloat16EEEvN5torch10headeronly6detail27GenericPackedTensorAccessorINS7_14TensorAccessorINS3_8ArrayRefIlEET_Lm3ENS6_16DefaultPtrTraitsElEENS_6detail16IndexBoundsCheckILm4ElEESC_Lm4ESD_lEENS8_INS9_ISB_KSC_Lm3ESD_lEESH_SJ_Lm4ESD_lEEiiii
    .private_segment_fixed_size: 0
    .sgpr_count:     36
    .sgpr_spill_count: 0
    .symbol:         _ZN2at6native12_GLOBAL__N_131replication_pad_backward_kernelIN3c108BFloat16EEEvN5torch10headeronly6detail27GenericPackedTensorAccessorINS7_14TensorAccessorINS3_8ArrayRefIlEET_Lm3ENS6_16DefaultPtrTraitsElEENS_6detail16IndexBoundsCheckILm4ElEESC_Lm4ESD_lEENS8_INS9_ISB_KSC_Lm3ESD_lEESH_SJ_Lm4ESD_lEEiiii.kd
    .uniform_work_group_size: 1
    .uses_dynamic_stack: false
    .vgpr_count:     15
    .vgpr_spill_count: 0
    .wavefront_size: 32
    .workgroup_processor_mode: 1
  - .args:
      - .offset:         0
        .size:           88
        .value_kind:     by_value
      - .offset:         88
        .size:           88
        .value_kind:     by_value
      - .offset:         176
        .size:           4
        .value_kind:     by_value
      - .offset:         180
        .size:           4
        .value_kind:     by_value
      - .offset:         184
        .size:           4
        .value_kind:     by_value
      - .offset:         188
        .size:           4
        .value_kind:     by_value
      - .offset:         192
        .size:           4
        .value_kind:     by_value
      - .offset:         200
        .size:           4
        .value_kind:     hidden_block_count_x
      - .offset:         204
        .size:           4
        .value_kind:     hidden_block_count_y
      - .offset:         208
        .size:           4
        .value_kind:     hidden_block_count_z
      - .offset:         212
        .size:           2
        .value_kind:     hidden_group_size_x
      - .offset:         214
        .size:           2
        .value_kind:     hidden_group_size_y
      - .offset:         216
        .size:           2
        .value_kind:     hidden_group_size_z
      - .offset:         218
        .size:           2
        .value_kind:     hidden_remainder_x
      - .offset:         220
        .size:           2
        .value_kind:     hidden_remainder_y
      - .offset:         222
        .size:           2
        .value_kind:     hidden_remainder_z
      - .offset:         240
        .size:           8
        .value_kind:     hidden_global_offset_x
      - .offset:         248
        .size:           8
        .value_kind:     hidden_global_offset_y
      - .offset:         256
        .size:           8
        .value_kind:     hidden_global_offset_z
      - .offset:         264
        .size:           2
        .value_kind:     hidden_grid_dims
    .group_segment_fixed_size: 0
    .kernarg_segment_align: 8
    .kernarg_segment_size: 456
    .language:       OpenCL C
    .language_version:
      - 2
      - 0
    .max_flat_workgroup_size: 1024
    .name:           _ZN2at6native12_GLOBAL__N_131replication_pad_backward_kernelIdEEvN5torch10headeronly6detail27GenericPackedTensorAccessorINS5_14TensorAccessorIN3c108ArrayRefIlEET_Lm4ENS4_16DefaultPtrTraitsElEENS_6detail16IndexBoundsCheckILm5ElEESB_Lm5ESC_lEENS6_INS7_ISA_KSB_Lm4ESC_lEESG_SI_Lm5ESC_lEEiiiii
    .private_segment_fixed_size: 0
    .sgpr_count:     42
    .sgpr_spill_count: 0
    .symbol:         _ZN2at6native12_GLOBAL__N_131replication_pad_backward_kernelIdEEvN5torch10headeronly6detail27GenericPackedTensorAccessorINS5_14TensorAccessorIN3c108ArrayRefIlEET_Lm4ENS4_16DefaultPtrTraitsElEENS_6detail16IndexBoundsCheckILm5ElEESB_Lm5ESC_lEENS6_INS7_ISA_KSB_Lm4ESC_lEESG_SI_Lm5ESC_lEEiiiii.kd
    .uniform_work_group_size: 1
    .uses_dynamic_stack: false
    .vgpr_count:     17
    .vgpr_spill_count: 0
    .wavefront_size: 32
    .workgroup_processor_mode: 1
  - .args:
      - .offset:         0
        .size:           88
        .value_kind:     by_value
      - .offset:         88
        .size:           88
        .value_kind:     by_value
      - .offset:         176
        .size:           4
        .value_kind:     by_value
      - .offset:         180
        .size:           4
        .value_kind:     by_value
      - .offset:         184
        .size:           4
        .value_kind:     by_value
      - .offset:         188
        .size:           4
        .value_kind:     by_value
      - .offset:         192
        .size:           4
        .value_kind:     by_value
      - .offset:         200
        .size:           4
        .value_kind:     hidden_block_count_x
      - .offset:         204
        .size:           4
        .value_kind:     hidden_block_count_y
      - .offset:         208
        .size:           4
        .value_kind:     hidden_block_count_z
      - .offset:         212
        .size:           2
        .value_kind:     hidden_group_size_x
      - .offset:         214
        .size:           2
        .value_kind:     hidden_group_size_y
      - .offset:         216
        .size:           2
        .value_kind:     hidden_group_size_z
      - .offset:         218
        .size:           2
        .value_kind:     hidden_remainder_x
      - .offset:         220
        .size:           2
        .value_kind:     hidden_remainder_y
      - .offset:         222
        .size:           2
        .value_kind:     hidden_remainder_z
      - .offset:         240
        .size:           8
        .value_kind:     hidden_global_offset_x
      - .offset:         248
        .size:           8
        .value_kind:     hidden_global_offset_y
      - .offset:         256
        .size:           8
        .value_kind:     hidden_global_offset_z
      - .offset:         264
        .size:           2
        .value_kind:     hidden_grid_dims
    .group_segment_fixed_size: 0
    .kernarg_segment_align: 8
    .kernarg_segment_size: 456
    .language:       OpenCL C
    .language_version:
      - 2
      - 0
    .max_flat_workgroup_size: 1024
    .name:           _ZN2at6native12_GLOBAL__N_131replication_pad_backward_kernelIfEEvN5torch10headeronly6detail27GenericPackedTensorAccessorINS5_14TensorAccessorIN3c108ArrayRefIlEET_Lm4ENS4_16DefaultPtrTraitsElEENS_6detail16IndexBoundsCheckILm5ElEESB_Lm5ESC_lEENS6_INS7_ISA_KSB_Lm4ESC_lEESG_SI_Lm5ESC_lEEiiiii
    .private_segment_fixed_size: 0
    .sgpr_count:     42
    .sgpr_spill_count: 0
    .symbol:         _ZN2at6native12_GLOBAL__N_131replication_pad_backward_kernelIfEEvN5torch10headeronly6detail27GenericPackedTensorAccessorINS5_14TensorAccessorIN3c108ArrayRefIlEET_Lm4ENS4_16DefaultPtrTraitsElEENS_6detail16IndexBoundsCheckILm5ElEESB_Lm5ESC_lEENS6_INS7_ISA_KSB_Lm4ESC_lEESG_SI_Lm5ESC_lEEiiiii.kd
    .uniform_work_group_size: 1
    .uses_dynamic_stack: false
    .vgpr_count:     17
    .vgpr_spill_count: 0
    .wavefront_size: 32
    .workgroup_processor_mode: 1
  - .args:
      - .offset:         0
        .size:           88
        .value_kind:     by_value
      - .offset:         88
        .size:           88
        .value_kind:     by_value
      - .offset:         176
        .size:           4
        .value_kind:     by_value
      - .offset:         180
        .size:           4
        .value_kind:     by_value
      - .offset:         184
        .size:           4
        .value_kind:     by_value
      - .offset:         188
        .size:           4
        .value_kind:     by_value
      - .offset:         192
        .size:           4
        .value_kind:     by_value
      - .offset:         200
        .size:           4
        .value_kind:     hidden_block_count_x
      - .offset:         204
        .size:           4
        .value_kind:     hidden_block_count_y
      - .offset:         208
        .size:           4
        .value_kind:     hidden_block_count_z
      - .offset:         212
        .size:           2
        .value_kind:     hidden_group_size_x
      - .offset:         214
        .size:           2
        .value_kind:     hidden_group_size_y
      - .offset:         216
        .size:           2
        .value_kind:     hidden_group_size_z
      - .offset:         218
        .size:           2
        .value_kind:     hidden_remainder_x
      - .offset:         220
        .size:           2
        .value_kind:     hidden_remainder_y
      - .offset:         222
        .size:           2
        .value_kind:     hidden_remainder_z
      - .offset:         240
        .size:           8
        .value_kind:     hidden_global_offset_x
      - .offset:         248
        .size:           8
        .value_kind:     hidden_global_offset_y
      - .offset:         256
        .size:           8
        .value_kind:     hidden_global_offset_z
      - .offset:         264
        .size:           2
        .value_kind:     hidden_grid_dims
    .group_segment_fixed_size: 0
    .kernarg_segment_align: 8
    .kernarg_segment_size: 456
    .language:       OpenCL C
    .language_version:
      - 2
      - 0
    .max_flat_workgroup_size: 1024
    .name:           _ZN2at6native12_GLOBAL__N_131replication_pad_backward_kernelIN3c107complexIdEEEEvN5torch10headeronly6detail27GenericPackedTensorAccessorINS8_14TensorAccessorINS3_8ArrayRefIlEET_Lm4ENS7_16DefaultPtrTraitsElEENS_6detail16IndexBoundsCheckILm5ElEESD_Lm5ESE_lEENS9_INSA_ISC_KSD_Lm4ESE_lEESI_SK_Lm5ESE_lEEiiiii
    .private_segment_fixed_size: 0
    .sgpr_count:     42
    .sgpr_spill_count: 0
    .symbol:         _ZN2at6native12_GLOBAL__N_131replication_pad_backward_kernelIN3c107complexIdEEEEvN5torch10headeronly6detail27GenericPackedTensorAccessorINS8_14TensorAccessorINS3_8ArrayRefIlEET_Lm4ENS7_16DefaultPtrTraitsElEENS_6detail16IndexBoundsCheckILm5ElEESD_Lm5ESE_lEENS9_INSA_ISC_KSD_Lm4ESE_lEESI_SK_Lm5ESE_lEEiiiii.kd
    .uniform_work_group_size: 1
    .uses_dynamic_stack: false
    .vgpr_count:     17
    .vgpr_spill_count: 0
    .wavefront_size: 32
    .workgroup_processor_mode: 1
  - .args:
      - .offset:         0
        .size:           88
        .value_kind:     by_value
      - .offset:         88
        .size:           88
        .value_kind:     by_value
      - .offset:         176
        .size:           4
        .value_kind:     by_value
      - .offset:         180
        .size:           4
        .value_kind:     by_value
      - .offset:         184
        .size:           4
        .value_kind:     by_value
      - .offset:         188
        .size:           4
        .value_kind:     by_value
      - .offset:         192
        .size:           4
        .value_kind:     by_value
      - .offset:         200
        .size:           4
        .value_kind:     hidden_block_count_x
      - .offset:         204
        .size:           4
        .value_kind:     hidden_block_count_y
      - .offset:         208
        .size:           4
        .value_kind:     hidden_block_count_z
      - .offset:         212
        .size:           2
        .value_kind:     hidden_group_size_x
      - .offset:         214
        .size:           2
        .value_kind:     hidden_group_size_y
      - .offset:         216
        .size:           2
        .value_kind:     hidden_group_size_z
      - .offset:         218
        .size:           2
        .value_kind:     hidden_remainder_x
      - .offset:         220
        .size:           2
        .value_kind:     hidden_remainder_y
      - .offset:         222
        .size:           2
        .value_kind:     hidden_remainder_z
      - .offset:         240
        .size:           8
        .value_kind:     hidden_global_offset_x
      - .offset:         248
        .size:           8
        .value_kind:     hidden_global_offset_y
      - .offset:         256
        .size:           8
        .value_kind:     hidden_global_offset_z
      - .offset:         264
        .size:           2
        .value_kind:     hidden_grid_dims
    .group_segment_fixed_size: 0
    .kernarg_segment_align: 8
    .kernarg_segment_size: 456
    .language:       OpenCL C
    .language_version:
      - 2
      - 0
    .max_flat_workgroup_size: 1024
    .name:           _ZN2at6native12_GLOBAL__N_131replication_pad_backward_kernelIN3c107complexIfEEEEvN5torch10headeronly6detail27GenericPackedTensorAccessorINS8_14TensorAccessorINS3_8ArrayRefIlEET_Lm4ENS7_16DefaultPtrTraitsElEENS_6detail16IndexBoundsCheckILm5ElEESD_Lm5ESE_lEENS9_INSA_ISC_KSD_Lm4ESE_lEESI_SK_Lm5ESE_lEEiiiii
    .private_segment_fixed_size: 0
    .sgpr_count:     42
    .sgpr_spill_count: 0
    .symbol:         _ZN2at6native12_GLOBAL__N_131replication_pad_backward_kernelIN3c107complexIfEEEEvN5torch10headeronly6detail27GenericPackedTensorAccessorINS8_14TensorAccessorINS3_8ArrayRefIlEET_Lm4ENS7_16DefaultPtrTraitsElEENS_6detail16IndexBoundsCheckILm5ElEESD_Lm5ESE_lEENS9_INSA_ISC_KSD_Lm4ESE_lEESI_SK_Lm5ESE_lEEiiiii.kd
    .uniform_work_group_size: 1
    .uses_dynamic_stack: false
    .vgpr_count:     17
    .vgpr_spill_count: 0
    .wavefront_size: 32
    .workgroup_processor_mode: 1
  - .args:
      - .offset:         0
        .size:           88
        .value_kind:     by_value
      - .offset:         88
        .size:           88
        .value_kind:     by_value
      - .offset:         176
        .size:           4
        .value_kind:     by_value
      - .offset:         180
        .size:           4
        .value_kind:     by_value
      - .offset:         184
        .size:           4
        .value_kind:     by_value
      - .offset:         188
        .size:           4
        .value_kind:     by_value
      - .offset:         192
        .size:           4
        .value_kind:     by_value
      - .offset:         200
        .size:           4
        .value_kind:     hidden_block_count_x
      - .offset:         204
        .size:           4
        .value_kind:     hidden_block_count_y
      - .offset:         208
        .size:           4
        .value_kind:     hidden_block_count_z
      - .offset:         212
        .size:           2
        .value_kind:     hidden_group_size_x
      - .offset:         214
        .size:           2
        .value_kind:     hidden_group_size_y
      - .offset:         216
        .size:           2
        .value_kind:     hidden_group_size_z
      - .offset:         218
        .size:           2
        .value_kind:     hidden_remainder_x
      - .offset:         220
        .size:           2
        .value_kind:     hidden_remainder_y
      - .offset:         222
        .size:           2
        .value_kind:     hidden_remainder_z
      - .offset:         240
        .size:           8
        .value_kind:     hidden_global_offset_x
      - .offset:         248
        .size:           8
        .value_kind:     hidden_global_offset_y
      - .offset:         256
        .size:           8
        .value_kind:     hidden_global_offset_z
      - .offset:         264
        .size:           2
        .value_kind:     hidden_grid_dims
    .group_segment_fixed_size: 0
    .kernarg_segment_align: 8
    .kernarg_segment_size: 456
    .language:       OpenCL C
    .language_version:
      - 2
      - 0
    .max_flat_workgroup_size: 1024
    .name:           _ZN2at6native12_GLOBAL__N_131replication_pad_backward_kernelIN3c104HalfEEEvN5torch10headeronly6detail27GenericPackedTensorAccessorINS7_14TensorAccessorINS3_8ArrayRefIlEET_Lm4ENS6_16DefaultPtrTraitsElEENS_6detail16IndexBoundsCheckILm5ElEESC_Lm5ESD_lEENS8_INS9_ISB_KSC_Lm4ESD_lEESH_SJ_Lm5ESD_lEEiiiii
    .private_segment_fixed_size: 0
    .sgpr_count:     42
    .sgpr_spill_count: 0
    .symbol:         _ZN2at6native12_GLOBAL__N_131replication_pad_backward_kernelIN3c104HalfEEEvN5torch10headeronly6detail27GenericPackedTensorAccessorINS7_14TensorAccessorINS3_8ArrayRefIlEET_Lm4ENS6_16DefaultPtrTraitsElEENS_6detail16IndexBoundsCheckILm5ElEESC_Lm5ESD_lEENS8_INS9_ISB_KSC_Lm4ESD_lEESH_SJ_Lm5ESD_lEEiiiii.kd
    .uniform_work_group_size: 1
    .uses_dynamic_stack: false
    .vgpr_count:     17
    .vgpr_spill_count: 0
    .wavefront_size: 32
    .workgroup_processor_mode: 1
  - .args:
      - .offset:         0
        .size:           88
        .value_kind:     by_value
      - .offset:         88
        .size:           88
        .value_kind:     by_value
      - .offset:         176
        .size:           4
        .value_kind:     by_value
      - .offset:         180
        .size:           4
        .value_kind:     by_value
      - .offset:         184
        .size:           4
        .value_kind:     by_value
      - .offset:         188
        .size:           4
        .value_kind:     by_value
      - .offset:         192
        .size:           4
        .value_kind:     by_value
      - .offset:         200
        .size:           4
        .value_kind:     hidden_block_count_x
      - .offset:         204
        .size:           4
        .value_kind:     hidden_block_count_y
      - .offset:         208
        .size:           4
        .value_kind:     hidden_block_count_z
      - .offset:         212
        .size:           2
        .value_kind:     hidden_group_size_x
      - .offset:         214
        .size:           2
        .value_kind:     hidden_group_size_y
      - .offset:         216
        .size:           2
        .value_kind:     hidden_group_size_z
      - .offset:         218
        .size:           2
        .value_kind:     hidden_remainder_x
      - .offset:         220
        .size:           2
        .value_kind:     hidden_remainder_y
      - .offset:         222
        .size:           2
        .value_kind:     hidden_remainder_z
      - .offset:         240
        .size:           8
        .value_kind:     hidden_global_offset_x
      - .offset:         248
        .size:           8
        .value_kind:     hidden_global_offset_y
      - .offset:         256
        .size:           8
        .value_kind:     hidden_global_offset_z
      - .offset:         264
        .size:           2
        .value_kind:     hidden_grid_dims
    .group_segment_fixed_size: 0
    .kernarg_segment_align: 8
    .kernarg_segment_size: 456
    .language:       OpenCL C
    .language_version:
      - 2
      - 0
    .max_flat_workgroup_size: 1024
    .name:           _ZN2at6native12_GLOBAL__N_131replication_pad_backward_kernelIN3c108BFloat16EEEvN5torch10headeronly6detail27GenericPackedTensorAccessorINS7_14TensorAccessorINS3_8ArrayRefIlEET_Lm4ENS6_16DefaultPtrTraitsElEENS_6detail16IndexBoundsCheckILm5ElEESC_Lm5ESD_lEENS8_INS9_ISB_KSC_Lm4ESD_lEESH_SJ_Lm5ESD_lEEiiiii
    .private_segment_fixed_size: 0
    .sgpr_count:     42
    .sgpr_spill_count: 0
    .symbol:         _ZN2at6native12_GLOBAL__N_131replication_pad_backward_kernelIN3c108BFloat16EEEvN5torch10headeronly6detail27GenericPackedTensorAccessorINS7_14TensorAccessorINS3_8ArrayRefIlEET_Lm4ENS6_16DefaultPtrTraitsElEENS_6detail16IndexBoundsCheckILm5ElEESC_Lm5ESD_lEENS8_INS9_ISB_KSC_Lm4ESD_lEESH_SJ_Lm5ESD_lEEiiiii.kd
    .uniform_work_group_size: 1
    .uses_dynamic_stack: false
    .vgpr_count:     17
    .vgpr_spill_count: 0
    .wavefront_size: 32
    .workgroup_processor_mode: 1
  - .args:
      - .offset:         0
        .size:           56
        .value_kind:     by_value
      - .offset:         56
        .size:           56
        .value_kind:     by_value
      - .offset:         112
        .size:           4
        .value_kind:     by_value
      - .offset:         116
        .size:           4
        .value_kind:     by_value
      - .offset:         120
        .size:           4
        .value_kind:     by_value
      - .offset:         128
        .size:           4
        .value_kind:     hidden_block_count_x
      - .offset:         132
        .size:           4
        .value_kind:     hidden_block_count_y
      - .offset:         136
        .size:           4
        .value_kind:     hidden_block_count_z
      - .offset:         140
        .size:           2
        .value_kind:     hidden_group_size_x
      - .offset:         142
        .size:           2
        .value_kind:     hidden_group_size_y
      - .offset:         144
        .size:           2
        .value_kind:     hidden_group_size_z
      - .offset:         146
        .size:           2
        .value_kind:     hidden_remainder_x
      - .offset:         148
        .size:           2
        .value_kind:     hidden_remainder_y
      - .offset:         150
        .size:           2
        .value_kind:     hidden_remainder_z
      - .offset:         168
        .size:           8
        .value_kind:     hidden_global_offset_x
      - .offset:         176
        .size:           8
        .value_kind:     hidden_global_offset_y
      - .offset:         184
        .size:           8
        .value_kind:     hidden_global_offset_z
      - .offset:         192
        .size:           2
        .value_kind:     hidden_grid_dims
    .group_segment_fixed_size: 0
    .kernarg_segment_align: 8
    .kernarg_segment_size: 384
    .language:       OpenCL C
    .language_version:
      - 2
      - 0
    .max_flat_workgroup_size: 1024
    .name:           _ZN2at6native12_GLOBAL__N_132replication_pad_forward_kernel1dIhEEvN5torch10headeronly6detail27GenericPackedTensorAccessorINS5_14TensorAccessorIN3c108ArrayRefIlEEKT_Lm2ENS4_16DefaultPtrTraitsElEENS_6detail16IndexBoundsCheckILm3ElEESC_Lm3ESD_lEENS6_INS7_ISA_SB_Lm2ESD_lEESH_SB_Lm3ESD_lEEiii
    .private_segment_fixed_size: 0
    .sgpr_count:     22
    .sgpr_spill_count: 0
    .symbol:         _ZN2at6native12_GLOBAL__N_132replication_pad_forward_kernel1dIhEEvN5torch10headeronly6detail27GenericPackedTensorAccessorINS5_14TensorAccessorIN3c108ArrayRefIlEEKT_Lm2ENS4_16DefaultPtrTraitsElEENS_6detail16IndexBoundsCheckILm3ElEESC_Lm3ESD_lEENS6_INS7_ISA_SB_Lm2ESD_lEESH_SB_Lm3ESD_lEEiii.kd
    .uniform_work_group_size: 1
    .uses_dynamic_stack: false
    .vgpr_count:     11
    .vgpr_spill_count: 0
    .wavefront_size: 32
    .workgroup_processor_mode: 1
  - .args:
      - .offset:         0
        .size:           56
        .value_kind:     by_value
      - .offset:         56
        .size:           56
        .value_kind:     by_value
      - .offset:         112
        .size:           4
        .value_kind:     by_value
      - .offset:         116
        .size:           4
        .value_kind:     by_value
      - .offset:         120
        .size:           4
        .value_kind:     by_value
      - .offset:         128
        .size:           4
        .value_kind:     hidden_block_count_x
      - .offset:         132
        .size:           4
        .value_kind:     hidden_block_count_y
      - .offset:         136
        .size:           4
        .value_kind:     hidden_block_count_z
      - .offset:         140
        .size:           2
        .value_kind:     hidden_group_size_x
      - .offset:         142
        .size:           2
        .value_kind:     hidden_group_size_y
      - .offset:         144
        .size:           2
        .value_kind:     hidden_group_size_z
      - .offset:         146
        .size:           2
        .value_kind:     hidden_remainder_x
      - .offset:         148
        .size:           2
        .value_kind:     hidden_remainder_y
      - .offset:         150
        .size:           2
        .value_kind:     hidden_remainder_z
      - .offset:         168
        .size:           8
        .value_kind:     hidden_global_offset_x
      - .offset:         176
        .size:           8
        .value_kind:     hidden_global_offset_y
      - .offset:         184
        .size:           8
        .value_kind:     hidden_global_offset_z
      - .offset:         192
        .size:           2
        .value_kind:     hidden_grid_dims
    .group_segment_fixed_size: 0
    .kernarg_segment_align: 8
    .kernarg_segment_size: 384
    .language:       OpenCL C
    .language_version:
      - 2
      - 0
    .max_flat_workgroup_size: 1024
    .name:           _ZN2at6native12_GLOBAL__N_132replication_pad_forward_kernel1dIaEEvN5torch10headeronly6detail27GenericPackedTensorAccessorINS5_14TensorAccessorIN3c108ArrayRefIlEEKT_Lm2ENS4_16DefaultPtrTraitsElEENS_6detail16IndexBoundsCheckILm3ElEESC_Lm3ESD_lEENS6_INS7_ISA_SB_Lm2ESD_lEESH_SB_Lm3ESD_lEEiii
    .private_segment_fixed_size: 0
    .sgpr_count:     22
    .sgpr_spill_count: 0
    .symbol:         _ZN2at6native12_GLOBAL__N_132replication_pad_forward_kernel1dIaEEvN5torch10headeronly6detail27GenericPackedTensorAccessorINS5_14TensorAccessorIN3c108ArrayRefIlEEKT_Lm2ENS4_16DefaultPtrTraitsElEENS_6detail16IndexBoundsCheckILm3ElEESC_Lm3ESD_lEENS6_INS7_ISA_SB_Lm2ESD_lEESH_SB_Lm3ESD_lEEiii.kd
    .uniform_work_group_size: 1
    .uses_dynamic_stack: false
    .vgpr_count:     11
    .vgpr_spill_count: 0
    .wavefront_size: 32
    .workgroup_processor_mode: 1
  - .args:
      - .offset:         0
        .size:           56
        .value_kind:     by_value
      - .offset:         56
        .size:           56
        .value_kind:     by_value
      - .offset:         112
        .size:           4
        .value_kind:     by_value
      - .offset:         116
        .size:           4
        .value_kind:     by_value
      - .offset:         120
        .size:           4
        .value_kind:     by_value
      - .offset:         128
        .size:           4
        .value_kind:     hidden_block_count_x
      - .offset:         132
        .size:           4
        .value_kind:     hidden_block_count_y
      - .offset:         136
        .size:           4
        .value_kind:     hidden_block_count_z
      - .offset:         140
        .size:           2
        .value_kind:     hidden_group_size_x
      - .offset:         142
        .size:           2
        .value_kind:     hidden_group_size_y
      - .offset:         144
        .size:           2
        .value_kind:     hidden_group_size_z
      - .offset:         146
        .size:           2
        .value_kind:     hidden_remainder_x
      - .offset:         148
        .size:           2
        .value_kind:     hidden_remainder_y
      - .offset:         150
        .size:           2
        .value_kind:     hidden_remainder_z
      - .offset:         168
        .size:           8
        .value_kind:     hidden_global_offset_x
      - .offset:         176
        .size:           8
        .value_kind:     hidden_global_offset_y
      - .offset:         184
        .size:           8
        .value_kind:     hidden_global_offset_z
      - .offset:         192
        .size:           2
        .value_kind:     hidden_grid_dims
    .group_segment_fixed_size: 0
    .kernarg_segment_align: 8
    .kernarg_segment_size: 384
    .language:       OpenCL C
    .language_version:
      - 2
      - 0
    .max_flat_workgroup_size: 1024
    .name:           _ZN2at6native12_GLOBAL__N_132replication_pad_forward_kernel1dIiEEvN5torch10headeronly6detail27GenericPackedTensorAccessorINS5_14TensorAccessorIN3c108ArrayRefIlEEKT_Lm2ENS4_16DefaultPtrTraitsElEENS_6detail16IndexBoundsCheckILm3ElEESC_Lm3ESD_lEENS6_INS7_ISA_SB_Lm2ESD_lEESH_SB_Lm3ESD_lEEiii
    .private_segment_fixed_size: 0
    .sgpr_count:     22
    .sgpr_spill_count: 0
    .symbol:         _ZN2at6native12_GLOBAL__N_132replication_pad_forward_kernel1dIiEEvN5torch10headeronly6detail27GenericPackedTensorAccessorINS5_14TensorAccessorIN3c108ArrayRefIlEEKT_Lm2ENS4_16DefaultPtrTraitsElEENS_6detail16IndexBoundsCheckILm3ElEESC_Lm3ESD_lEENS6_INS7_ISA_SB_Lm2ESD_lEESH_SB_Lm3ESD_lEEiii.kd
    .uniform_work_group_size: 1
    .uses_dynamic_stack: false
    .vgpr_count:     11
    .vgpr_spill_count: 0
    .wavefront_size: 32
    .workgroup_processor_mode: 1
  - .args:
      - .offset:         0
        .size:           56
        .value_kind:     by_value
      - .offset:         56
        .size:           56
        .value_kind:     by_value
      - .offset:         112
        .size:           4
        .value_kind:     by_value
      - .offset:         116
        .size:           4
        .value_kind:     by_value
      - .offset:         120
        .size:           4
        .value_kind:     by_value
      - .offset:         128
        .size:           4
        .value_kind:     hidden_block_count_x
      - .offset:         132
        .size:           4
        .value_kind:     hidden_block_count_y
      - .offset:         136
        .size:           4
        .value_kind:     hidden_block_count_z
      - .offset:         140
        .size:           2
        .value_kind:     hidden_group_size_x
      - .offset:         142
        .size:           2
        .value_kind:     hidden_group_size_y
      - .offset:         144
        .size:           2
        .value_kind:     hidden_group_size_z
      - .offset:         146
        .size:           2
        .value_kind:     hidden_remainder_x
      - .offset:         148
        .size:           2
        .value_kind:     hidden_remainder_y
      - .offset:         150
        .size:           2
        .value_kind:     hidden_remainder_z
      - .offset:         168
        .size:           8
        .value_kind:     hidden_global_offset_x
      - .offset:         176
        .size:           8
        .value_kind:     hidden_global_offset_y
      - .offset:         184
        .size:           8
        .value_kind:     hidden_global_offset_z
      - .offset:         192
        .size:           2
        .value_kind:     hidden_grid_dims
    .group_segment_fixed_size: 0
    .kernarg_segment_align: 8
    .kernarg_segment_size: 384
    .language:       OpenCL C
    .language_version:
      - 2
      - 0
    .max_flat_workgroup_size: 1024
    .name:           _ZN2at6native12_GLOBAL__N_132replication_pad_forward_kernel1dIlEEvN5torch10headeronly6detail27GenericPackedTensorAccessorINS5_14TensorAccessorIN3c108ArrayRefIlEEKT_Lm2ENS4_16DefaultPtrTraitsElEENS_6detail16IndexBoundsCheckILm3ElEESC_Lm3ESD_lEENS6_INS7_ISA_SB_Lm2ESD_lEESH_SB_Lm3ESD_lEEiii
    .private_segment_fixed_size: 0
    .sgpr_count:     22
    .sgpr_spill_count: 0
    .symbol:         _ZN2at6native12_GLOBAL__N_132replication_pad_forward_kernel1dIlEEvN5torch10headeronly6detail27GenericPackedTensorAccessorINS5_14TensorAccessorIN3c108ArrayRefIlEEKT_Lm2ENS4_16DefaultPtrTraitsElEENS_6detail16IndexBoundsCheckILm3ElEESC_Lm3ESD_lEENS6_INS7_ISA_SB_Lm2ESD_lEESH_SB_Lm3ESD_lEEiii.kd
    .uniform_work_group_size: 1
    .uses_dynamic_stack: false
    .vgpr_count:     11
    .vgpr_spill_count: 0
    .wavefront_size: 32
    .workgroup_processor_mode: 1
  - .args:
      - .offset:         0
        .size:           56
        .value_kind:     by_value
      - .offset:         56
        .size:           56
        .value_kind:     by_value
      - .offset:         112
        .size:           4
        .value_kind:     by_value
      - .offset:         116
        .size:           4
        .value_kind:     by_value
      - .offset:         120
        .size:           4
        .value_kind:     by_value
      - .offset:         128
        .size:           4
        .value_kind:     hidden_block_count_x
      - .offset:         132
        .size:           4
        .value_kind:     hidden_block_count_y
      - .offset:         136
        .size:           4
        .value_kind:     hidden_block_count_z
      - .offset:         140
        .size:           2
        .value_kind:     hidden_group_size_x
      - .offset:         142
        .size:           2
        .value_kind:     hidden_group_size_y
      - .offset:         144
        .size:           2
        .value_kind:     hidden_group_size_z
      - .offset:         146
        .size:           2
        .value_kind:     hidden_remainder_x
      - .offset:         148
        .size:           2
        .value_kind:     hidden_remainder_y
      - .offset:         150
        .size:           2
        .value_kind:     hidden_remainder_z
      - .offset:         168
        .size:           8
        .value_kind:     hidden_global_offset_x
      - .offset:         176
        .size:           8
        .value_kind:     hidden_global_offset_y
      - .offset:         184
        .size:           8
        .value_kind:     hidden_global_offset_z
      - .offset:         192
        .size:           2
        .value_kind:     hidden_grid_dims
    .group_segment_fixed_size: 0
    .kernarg_segment_align: 8
    .kernarg_segment_size: 384
    .language:       OpenCL C
    .language_version:
      - 2
      - 0
    .max_flat_workgroup_size: 1024
    .name:           _ZN2at6native12_GLOBAL__N_132replication_pad_forward_kernel1dIsEEvN5torch10headeronly6detail27GenericPackedTensorAccessorINS5_14TensorAccessorIN3c108ArrayRefIlEEKT_Lm2ENS4_16DefaultPtrTraitsElEENS_6detail16IndexBoundsCheckILm3ElEESC_Lm3ESD_lEENS6_INS7_ISA_SB_Lm2ESD_lEESH_SB_Lm3ESD_lEEiii
    .private_segment_fixed_size: 0
    .sgpr_count:     22
    .sgpr_spill_count: 0
    .symbol:         _ZN2at6native12_GLOBAL__N_132replication_pad_forward_kernel1dIsEEvN5torch10headeronly6detail27GenericPackedTensorAccessorINS5_14TensorAccessorIN3c108ArrayRefIlEEKT_Lm2ENS4_16DefaultPtrTraitsElEENS_6detail16IndexBoundsCheckILm3ElEESC_Lm3ESD_lEENS6_INS7_ISA_SB_Lm2ESD_lEESH_SB_Lm3ESD_lEEiii.kd
    .uniform_work_group_size: 1
    .uses_dynamic_stack: false
    .vgpr_count:     11
    .vgpr_spill_count: 0
    .wavefront_size: 32
    .workgroup_processor_mode: 1
  - .args:
      - .offset:         0
        .size:           56
        .value_kind:     by_value
      - .offset:         56
        .size:           56
        .value_kind:     by_value
      - .offset:         112
        .size:           4
        .value_kind:     by_value
      - .offset:         116
        .size:           4
        .value_kind:     by_value
      - .offset:         120
        .size:           4
        .value_kind:     by_value
      - .offset:         128
        .size:           4
        .value_kind:     hidden_block_count_x
      - .offset:         132
        .size:           4
        .value_kind:     hidden_block_count_y
      - .offset:         136
        .size:           4
        .value_kind:     hidden_block_count_z
      - .offset:         140
        .size:           2
        .value_kind:     hidden_group_size_x
      - .offset:         142
        .size:           2
        .value_kind:     hidden_group_size_y
      - .offset:         144
        .size:           2
        .value_kind:     hidden_group_size_z
      - .offset:         146
        .size:           2
        .value_kind:     hidden_remainder_x
      - .offset:         148
        .size:           2
        .value_kind:     hidden_remainder_y
      - .offset:         150
        .size:           2
        .value_kind:     hidden_remainder_z
      - .offset:         168
        .size:           8
        .value_kind:     hidden_global_offset_x
      - .offset:         176
        .size:           8
        .value_kind:     hidden_global_offset_y
      - .offset:         184
        .size:           8
        .value_kind:     hidden_global_offset_z
      - .offset:         192
        .size:           2
        .value_kind:     hidden_grid_dims
    .group_segment_fixed_size: 0
    .kernarg_segment_align: 8
    .kernarg_segment_size: 384
    .language:       OpenCL C
    .language_version:
      - 2
      - 0
    .max_flat_workgroup_size: 1024
    .name:           _ZN2at6native12_GLOBAL__N_132replication_pad_forward_kernel1dIdEEvN5torch10headeronly6detail27GenericPackedTensorAccessorINS5_14TensorAccessorIN3c108ArrayRefIlEEKT_Lm2ENS4_16DefaultPtrTraitsElEENS_6detail16IndexBoundsCheckILm3ElEESC_Lm3ESD_lEENS6_INS7_ISA_SB_Lm2ESD_lEESH_SB_Lm3ESD_lEEiii
    .private_segment_fixed_size: 0
    .sgpr_count:     22
    .sgpr_spill_count: 0
    .symbol:         _ZN2at6native12_GLOBAL__N_132replication_pad_forward_kernel1dIdEEvN5torch10headeronly6detail27GenericPackedTensorAccessorINS5_14TensorAccessorIN3c108ArrayRefIlEEKT_Lm2ENS4_16DefaultPtrTraitsElEENS_6detail16IndexBoundsCheckILm3ElEESC_Lm3ESD_lEENS6_INS7_ISA_SB_Lm2ESD_lEESH_SB_Lm3ESD_lEEiii.kd
    .uniform_work_group_size: 1
    .uses_dynamic_stack: false
    .vgpr_count:     11
    .vgpr_spill_count: 0
    .wavefront_size: 32
    .workgroup_processor_mode: 1
  - .args:
      - .offset:         0
        .size:           56
        .value_kind:     by_value
      - .offset:         56
        .size:           56
        .value_kind:     by_value
      - .offset:         112
        .size:           4
        .value_kind:     by_value
      - .offset:         116
        .size:           4
        .value_kind:     by_value
      - .offset:         120
        .size:           4
        .value_kind:     by_value
      - .offset:         128
        .size:           4
        .value_kind:     hidden_block_count_x
      - .offset:         132
        .size:           4
        .value_kind:     hidden_block_count_y
      - .offset:         136
        .size:           4
        .value_kind:     hidden_block_count_z
      - .offset:         140
        .size:           2
        .value_kind:     hidden_group_size_x
      - .offset:         142
        .size:           2
        .value_kind:     hidden_group_size_y
      - .offset:         144
        .size:           2
        .value_kind:     hidden_group_size_z
      - .offset:         146
        .size:           2
        .value_kind:     hidden_remainder_x
      - .offset:         148
        .size:           2
        .value_kind:     hidden_remainder_y
      - .offset:         150
        .size:           2
        .value_kind:     hidden_remainder_z
      - .offset:         168
        .size:           8
        .value_kind:     hidden_global_offset_x
      - .offset:         176
        .size:           8
        .value_kind:     hidden_global_offset_y
      - .offset:         184
        .size:           8
        .value_kind:     hidden_global_offset_z
      - .offset:         192
        .size:           2
        .value_kind:     hidden_grid_dims
    .group_segment_fixed_size: 0
    .kernarg_segment_align: 8
    .kernarg_segment_size: 384
    .language:       OpenCL C
    .language_version:
      - 2
      - 0
    .max_flat_workgroup_size: 1024
    .name:           _ZN2at6native12_GLOBAL__N_132replication_pad_forward_kernel1dIfEEvN5torch10headeronly6detail27GenericPackedTensorAccessorINS5_14TensorAccessorIN3c108ArrayRefIlEEKT_Lm2ENS4_16DefaultPtrTraitsElEENS_6detail16IndexBoundsCheckILm3ElEESC_Lm3ESD_lEENS6_INS7_ISA_SB_Lm2ESD_lEESH_SB_Lm3ESD_lEEiii
    .private_segment_fixed_size: 0
    .sgpr_count:     22
    .sgpr_spill_count: 0
    .symbol:         _ZN2at6native12_GLOBAL__N_132replication_pad_forward_kernel1dIfEEvN5torch10headeronly6detail27GenericPackedTensorAccessorINS5_14TensorAccessorIN3c108ArrayRefIlEEKT_Lm2ENS4_16DefaultPtrTraitsElEENS_6detail16IndexBoundsCheckILm3ElEESC_Lm3ESD_lEENS6_INS7_ISA_SB_Lm2ESD_lEESH_SB_Lm3ESD_lEEiii.kd
    .uniform_work_group_size: 1
    .uses_dynamic_stack: false
    .vgpr_count:     11
    .vgpr_spill_count: 0
    .wavefront_size: 32
    .workgroup_processor_mode: 1
  - .args:
      - .offset:         0
        .size:           56
        .value_kind:     by_value
      - .offset:         56
        .size:           56
        .value_kind:     by_value
      - .offset:         112
        .size:           4
        .value_kind:     by_value
      - .offset:         116
        .size:           4
        .value_kind:     by_value
      - .offset:         120
        .size:           4
        .value_kind:     by_value
      - .offset:         128
        .size:           4
        .value_kind:     hidden_block_count_x
      - .offset:         132
        .size:           4
        .value_kind:     hidden_block_count_y
      - .offset:         136
        .size:           4
        .value_kind:     hidden_block_count_z
      - .offset:         140
        .size:           2
        .value_kind:     hidden_group_size_x
      - .offset:         142
        .size:           2
        .value_kind:     hidden_group_size_y
      - .offset:         144
        .size:           2
        .value_kind:     hidden_group_size_z
      - .offset:         146
        .size:           2
        .value_kind:     hidden_remainder_x
      - .offset:         148
        .size:           2
        .value_kind:     hidden_remainder_y
      - .offset:         150
        .size:           2
        .value_kind:     hidden_remainder_z
      - .offset:         168
        .size:           8
        .value_kind:     hidden_global_offset_x
      - .offset:         176
        .size:           8
        .value_kind:     hidden_global_offset_y
      - .offset:         184
        .size:           8
        .value_kind:     hidden_global_offset_z
      - .offset:         192
        .size:           2
        .value_kind:     hidden_grid_dims
    .group_segment_fixed_size: 0
    .kernarg_segment_align: 8
    .kernarg_segment_size: 384
    .language:       OpenCL C
    .language_version:
      - 2
      - 0
    .max_flat_workgroup_size: 1024
    .name:           _ZN2at6native12_GLOBAL__N_132replication_pad_forward_kernel1dIN3c107complexIdEEEEvN5torch10headeronly6detail27GenericPackedTensorAccessorINS8_14TensorAccessorINS3_8ArrayRefIlEEKT_Lm2ENS7_16DefaultPtrTraitsElEENS_6detail16IndexBoundsCheckILm3ElEESE_Lm3ESF_lEENS9_INSA_ISC_SD_Lm2ESF_lEESJ_SD_Lm3ESF_lEEiii
    .private_segment_fixed_size: 0
    .sgpr_count:     22
    .sgpr_spill_count: 0
    .symbol:         _ZN2at6native12_GLOBAL__N_132replication_pad_forward_kernel1dIN3c107complexIdEEEEvN5torch10headeronly6detail27GenericPackedTensorAccessorINS8_14TensorAccessorINS3_8ArrayRefIlEEKT_Lm2ENS7_16DefaultPtrTraitsElEENS_6detail16IndexBoundsCheckILm3ElEESE_Lm3ESF_lEENS9_INSA_ISC_SD_Lm2ESF_lEESJ_SD_Lm3ESF_lEEiii.kd
    .uniform_work_group_size: 1
    .uses_dynamic_stack: false
    .vgpr_count:     11
    .vgpr_spill_count: 0
    .wavefront_size: 32
    .workgroup_processor_mode: 1
  - .args:
      - .offset:         0
        .size:           56
        .value_kind:     by_value
      - .offset:         56
        .size:           56
        .value_kind:     by_value
      - .offset:         112
        .size:           4
        .value_kind:     by_value
      - .offset:         116
        .size:           4
        .value_kind:     by_value
      - .offset:         120
        .size:           4
        .value_kind:     by_value
      - .offset:         128
        .size:           4
        .value_kind:     hidden_block_count_x
      - .offset:         132
        .size:           4
        .value_kind:     hidden_block_count_y
      - .offset:         136
        .size:           4
        .value_kind:     hidden_block_count_z
      - .offset:         140
        .size:           2
        .value_kind:     hidden_group_size_x
      - .offset:         142
        .size:           2
        .value_kind:     hidden_group_size_y
      - .offset:         144
        .size:           2
        .value_kind:     hidden_group_size_z
      - .offset:         146
        .size:           2
        .value_kind:     hidden_remainder_x
      - .offset:         148
        .size:           2
        .value_kind:     hidden_remainder_y
      - .offset:         150
        .size:           2
        .value_kind:     hidden_remainder_z
      - .offset:         168
        .size:           8
        .value_kind:     hidden_global_offset_x
      - .offset:         176
        .size:           8
        .value_kind:     hidden_global_offset_y
      - .offset:         184
        .size:           8
        .value_kind:     hidden_global_offset_z
      - .offset:         192
        .size:           2
        .value_kind:     hidden_grid_dims
    .group_segment_fixed_size: 0
    .kernarg_segment_align: 8
    .kernarg_segment_size: 384
    .language:       OpenCL C
    .language_version:
      - 2
      - 0
    .max_flat_workgroup_size: 1024
    .name:           _ZN2at6native12_GLOBAL__N_132replication_pad_forward_kernel1dIN3c107complexIfEEEEvN5torch10headeronly6detail27GenericPackedTensorAccessorINS8_14TensorAccessorINS3_8ArrayRefIlEEKT_Lm2ENS7_16DefaultPtrTraitsElEENS_6detail16IndexBoundsCheckILm3ElEESE_Lm3ESF_lEENS9_INSA_ISC_SD_Lm2ESF_lEESJ_SD_Lm3ESF_lEEiii
    .private_segment_fixed_size: 0
    .sgpr_count:     22
    .sgpr_spill_count: 0
    .symbol:         _ZN2at6native12_GLOBAL__N_132replication_pad_forward_kernel1dIN3c107complexIfEEEEvN5torch10headeronly6detail27GenericPackedTensorAccessorINS8_14TensorAccessorINS3_8ArrayRefIlEEKT_Lm2ENS7_16DefaultPtrTraitsElEENS_6detail16IndexBoundsCheckILm3ElEESE_Lm3ESF_lEENS9_INSA_ISC_SD_Lm2ESF_lEESJ_SD_Lm3ESF_lEEiii.kd
    .uniform_work_group_size: 1
    .uses_dynamic_stack: false
    .vgpr_count:     11
    .vgpr_spill_count: 0
    .wavefront_size: 32
    .workgroup_processor_mode: 1
  - .args:
      - .offset:         0
        .size:           56
        .value_kind:     by_value
      - .offset:         56
        .size:           56
        .value_kind:     by_value
      - .offset:         112
        .size:           4
        .value_kind:     by_value
      - .offset:         116
        .size:           4
        .value_kind:     by_value
      - .offset:         120
        .size:           4
        .value_kind:     by_value
      - .offset:         128
        .size:           4
        .value_kind:     hidden_block_count_x
      - .offset:         132
        .size:           4
        .value_kind:     hidden_block_count_y
      - .offset:         136
        .size:           4
        .value_kind:     hidden_block_count_z
      - .offset:         140
        .size:           2
        .value_kind:     hidden_group_size_x
      - .offset:         142
        .size:           2
        .value_kind:     hidden_group_size_y
      - .offset:         144
        .size:           2
        .value_kind:     hidden_group_size_z
      - .offset:         146
        .size:           2
        .value_kind:     hidden_remainder_x
      - .offset:         148
        .size:           2
        .value_kind:     hidden_remainder_y
      - .offset:         150
        .size:           2
        .value_kind:     hidden_remainder_z
      - .offset:         168
        .size:           8
        .value_kind:     hidden_global_offset_x
      - .offset:         176
        .size:           8
        .value_kind:     hidden_global_offset_y
      - .offset:         184
        .size:           8
        .value_kind:     hidden_global_offset_z
      - .offset:         192
        .size:           2
        .value_kind:     hidden_grid_dims
    .group_segment_fixed_size: 0
    .kernarg_segment_align: 8
    .kernarg_segment_size: 384
    .language:       OpenCL C
    .language_version:
      - 2
      - 0
    .max_flat_workgroup_size: 1024
    .name:           _ZN2at6native12_GLOBAL__N_132replication_pad_forward_kernel1dIN3c104HalfEEEvN5torch10headeronly6detail27GenericPackedTensorAccessorINS7_14TensorAccessorINS3_8ArrayRefIlEEKT_Lm2ENS6_16DefaultPtrTraitsElEENS_6detail16IndexBoundsCheckILm3ElEESD_Lm3ESE_lEENS8_INS9_ISB_SC_Lm2ESE_lEESI_SC_Lm3ESE_lEEiii
    .private_segment_fixed_size: 0
    .sgpr_count:     22
    .sgpr_spill_count: 0
    .symbol:         _ZN2at6native12_GLOBAL__N_132replication_pad_forward_kernel1dIN3c104HalfEEEvN5torch10headeronly6detail27GenericPackedTensorAccessorINS7_14TensorAccessorINS3_8ArrayRefIlEEKT_Lm2ENS6_16DefaultPtrTraitsElEENS_6detail16IndexBoundsCheckILm3ElEESD_Lm3ESE_lEENS8_INS9_ISB_SC_Lm2ESE_lEESI_SC_Lm3ESE_lEEiii.kd
    .uniform_work_group_size: 1
    .uses_dynamic_stack: false
    .vgpr_count:     11
    .vgpr_spill_count: 0
    .wavefront_size: 32
    .workgroup_processor_mode: 1
  - .args:
      - .offset:         0
        .size:           56
        .value_kind:     by_value
      - .offset:         56
        .size:           56
        .value_kind:     by_value
      - .offset:         112
        .size:           4
        .value_kind:     by_value
      - .offset:         116
        .size:           4
        .value_kind:     by_value
      - .offset:         120
        .size:           4
        .value_kind:     by_value
      - .offset:         128
        .size:           4
        .value_kind:     hidden_block_count_x
      - .offset:         132
        .size:           4
        .value_kind:     hidden_block_count_y
      - .offset:         136
        .size:           4
        .value_kind:     hidden_block_count_z
      - .offset:         140
        .size:           2
        .value_kind:     hidden_group_size_x
      - .offset:         142
        .size:           2
        .value_kind:     hidden_group_size_y
      - .offset:         144
        .size:           2
        .value_kind:     hidden_group_size_z
      - .offset:         146
        .size:           2
        .value_kind:     hidden_remainder_x
      - .offset:         148
        .size:           2
        .value_kind:     hidden_remainder_y
      - .offset:         150
        .size:           2
        .value_kind:     hidden_remainder_z
      - .offset:         168
        .size:           8
        .value_kind:     hidden_global_offset_x
      - .offset:         176
        .size:           8
        .value_kind:     hidden_global_offset_y
      - .offset:         184
        .size:           8
        .value_kind:     hidden_global_offset_z
      - .offset:         192
        .size:           2
        .value_kind:     hidden_grid_dims
    .group_segment_fixed_size: 0
    .kernarg_segment_align: 8
    .kernarg_segment_size: 384
    .language:       OpenCL C
    .language_version:
      - 2
      - 0
    .max_flat_workgroup_size: 1024
    .name:           _ZN2at6native12_GLOBAL__N_132replication_pad_forward_kernel1dIN3c108BFloat16EEEvN5torch10headeronly6detail27GenericPackedTensorAccessorINS7_14TensorAccessorINS3_8ArrayRefIlEEKT_Lm2ENS6_16DefaultPtrTraitsElEENS_6detail16IndexBoundsCheckILm3ElEESD_Lm3ESE_lEENS8_INS9_ISB_SC_Lm2ESE_lEESI_SC_Lm3ESE_lEEiii
    .private_segment_fixed_size: 0
    .sgpr_count:     22
    .sgpr_spill_count: 0
    .symbol:         _ZN2at6native12_GLOBAL__N_132replication_pad_forward_kernel1dIN3c108BFloat16EEEvN5torch10headeronly6detail27GenericPackedTensorAccessorINS7_14TensorAccessorINS3_8ArrayRefIlEEKT_Lm2ENS6_16DefaultPtrTraitsElEENS_6detail16IndexBoundsCheckILm3ElEESD_Lm3ESE_lEENS8_INS9_ISB_SC_Lm2ESE_lEESI_SC_Lm3ESE_lEEiii.kd
    .uniform_work_group_size: 1
    .uses_dynamic_stack: false
    .vgpr_count:     11
    .vgpr_spill_count: 0
    .wavefront_size: 32
    .workgroup_processor_mode: 1
  - .args:
      - .offset:         0
        .size:           56
        .value_kind:     by_value
      - .offset:         56
        .size:           56
        .value_kind:     by_value
      - .offset:         112
        .size:           4
        .value_kind:     by_value
      - .offset:         116
        .size:           4
        .value_kind:     by_value
      - .offset:         120
        .size:           4
        .value_kind:     by_value
      - .offset:         128
        .size:           4
        .value_kind:     hidden_block_count_x
      - .offset:         132
        .size:           4
        .value_kind:     hidden_block_count_y
      - .offset:         136
        .size:           4
        .value_kind:     hidden_block_count_z
      - .offset:         140
        .size:           2
        .value_kind:     hidden_group_size_x
      - .offset:         142
        .size:           2
        .value_kind:     hidden_group_size_y
      - .offset:         144
        .size:           2
        .value_kind:     hidden_group_size_z
      - .offset:         146
        .size:           2
        .value_kind:     hidden_remainder_x
      - .offset:         148
        .size:           2
        .value_kind:     hidden_remainder_y
      - .offset:         150
        .size:           2
        .value_kind:     hidden_remainder_z
      - .offset:         168
        .size:           8
        .value_kind:     hidden_global_offset_x
      - .offset:         176
        .size:           8
        .value_kind:     hidden_global_offset_y
      - .offset:         184
        .size:           8
        .value_kind:     hidden_global_offset_z
      - .offset:         192
        .size:           2
        .value_kind:     hidden_grid_dims
    .group_segment_fixed_size: 0
    .kernarg_segment_align: 8
    .kernarg_segment_size: 384
    .language:       OpenCL C
    .language_version:
      - 2
      - 0
    .max_flat_workgroup_size: 1024
    .name:           _ZN2at6native12_GLOBAL__N_131replication_pad_backward_kernelIdEEvN5torch10headeronly6detail27GenericPackedTensorAccessorINS5_14TensorAccessorIN3c108ArrayRefIlEET_Lm2ENS4_16DefaultPtrTraitsElEENS_6detail16IndexBoundsCheckILm3ElEESB_Lm3ESC_lEENS6_INS7_ISA_KSB_Lm2ESC_lEESG_SI_Lm3ESC_lEEiii
    .private_segment_fixed_size: 0
    .sgpr_count:     26
    .sgpr_spill_count: 0
    .symbol:         _ZN2at6native12_GLOBAL__N_131replication_pad_backward_kernelIdEEvN5torch10headeronly6detail27GenericPackedTensorAccessorINS5_14TensorAccessorIN3c108ArrayRefIlEET_Lm2ENS4_16DefaultPtrTraitsElEENS_6detail16IndexBoundsCheckILm3ElEESB_Lm3ESC_lEENS6_INS7_ISA_KSB_Lm2ESC_lEESG_SI_Lm3ESC_lEEiii.kd
    .uniform_work_group_size: 1
    .uses_dynamic_stack: false
    .vgpr_count:     11
    .vgpr_spill_count: 0
    .wavefront_size: 32
    .workgroup_processor_mode: 1
  - .args:
      - .offset:         0
        .size:           56
        .value_kind:     by_value
      - .offset:         56
        .size:           56
        .value_kind:     by_value
      - .offset:         112
        .size:           4
        .value_kind:     by_value
      - .offset:         116
        .size:           4
        .value_kind:     by_value
      - .offset:         120
        .size:           4
        .value_kind:     by_value
      - .offset:         128
        .size:           4
        .value_kind:     hidden_block_count_x
      - .offset:         132
        .size:           4
        .value_kind:     hidden_block_count_y
      - .offset:         136
        .size:           4
        .value_kind:     hidden_block_count_z
      - .offset:         140
        .size:           2
        .value_kind:     hidden_group_size_x
      - .offset:         142
        .size:           2
        .value_kind:     hidden_group_size_y
      - .offset:         144
        .size:           2
        .value_kind:     hidden_group_size_z
      - .offset:         146
        .size:           2
        .value_kind:     hidden_remainder_x
      - .offset:         148
        .size:           2
        .value_kind:     hidden_remainder_y
      - .offset:         150
        .size:           2
        .value_kind:     hidden_remainder_z
      - .offset:         168
        .size:           8
        .value_kind:     hidden_global_offset_x
      - .offset:         176
        .size:           8
        .value_kind:     hidden_global_offset_y
      - .offset:         184
        .size:           8
        .value_kind:     hidden_global_offset_z
      - .offset:         192
        .size:           2
        .value_kind:     hidden_grid_dims
    .group_segment_fixed_size: 0
    .kernarg_segment_align: 8
    .kernarg_segment_size: 384
    .language:       OpenCL C
    .language_version:
      - 2
      - 0
    .max_flat_workgroup_size: 1024
    .name:           _ZN2at6native12_GLOBAL__N_131replication_pad_backward_kernelIfEEvN5torch10headeronly6detail27GenericPackedTensorAccessorINS5_14TensorAccessorIN3c108ArrayRefIlEET_Lm2ENS4_16DefaultPtrTraitsElEENS_6detail16IndexBoundsCheckILm3ElEESB_Lm3ESC_lEENS6_INS7_ISA_KSB_Lm2ESC_lEESG_SI_Lm3ESC_lEEiii
    .private_segment_fixed_size: 0
    .sgpr_count:     26
    .sgpr_spill_count: 0
    .symbol:         _ZN2at6native12_GLOBAL__N_131replication_pad_backward_kernelIfEEvN5torch10headeronly6detail27GenericPackedTensorAccessorINS5_14TensorAccessorIN3c108ArrayRefIlEET_Lm2ENS4_16DefaultPtrTraitsElEENS_6detail16IndexBoundsCheckILm3ElEESB_Lm3ESC_lEENS6_INS7_ISA_KSB_Lm2ESC_lEESG_SI_Lm3ESC_lEEiii.kd
    .uniform_work_group_size: 1
    .uses_dynamic_stack: false
    .vgpr_count:     11
    .vgpr_spill_count: 0
    .wavefront_size: 32
    .workgroup_processor_mode: 1
  - .args:
      - .offset:         0
        .size:           56
        .value_kind:     by_value
      - .offset:         56
        .size:           56
        .value_kind:     by_value
      - .offset:         112
        .size:           4
        .value_kind:     by_value
      - .offset:         116
        .size:           4
        .value_kind:     by_value
      - .offset:         120
        .size:           4
        .value_kind:     by_value
      - .offset:         128
        .size:           4
        .value_kind:     hidden_block_count_x
      - .offset:         132
        .size:           4
        .value_kind:     hidden_block_count_y
      - .offset:         136
        .size:           4
        .value_kind:     hidden_block_count_z
      - .offset:         140
        .size:           2
        .value_kind:     hidden_group_size_x
      - .offset:         142
        .size:           2
        .value_kind:     hidden_group_size_y
      - .offset:         144
        .size:           2
        .value_kind:     hidden_group_size_z
      - .offset:         146
        .size:           2
        .value_kind:     hidden_remainder_x
      - .offset:         148
        .size:           2
        .value_kind:     hidden_remainder_y
      - .offset:         150
        .size:           2
        .value_kind:     hidden_remainder_z
      - .offset:         168
        .size:           8
        .value_kind:     hidden_global_offset_x
      - .offset:         176
        .size:           8
        .value_kind:     hidden_global_offset_y
      - .offset:         184
        .size:           8
        .value_kind:     hidden_global_offset_z
      - .offset:         192
        .size:           2
        .value_kind:     hidden_grid_dims
    .group_segment_fixed_size: 0
    .kernarg_segment_align: 8
    .kernarg_segment_size: 384
    .language:       OpenCL C
    .language_version:
      - 2
      - 0
    .max_flat_workgroup_size: 1024
    .name:           _ZN2at6native12_GLOBAL__N_131replication_pad_backward_kernelIN3c107complexIdEEEEvN5torch10headeronly6detail27GenericPackedTensorAccessorINS8_14TensorAccessorINS3_8ArrayRefIlEET_Lm2ENS7_16DefaultPtrTraitsElEENS_6detail16IndexBoundsCheckILm3ElEESD_Lm3ESE_lEENS9_INSA_ISC_KSD_Lm2ESE_lEESI_SK_Lm3ESE_lEEiii
    .private_segment_fixed_size: 0
    .sgpr_count:     26
    .sgpr_spill_count: 0
    .symbol:         _ZN2at6native12_GLOBAL__N_131replication_pad_backward_kernelIN3c107complexIdEEEEvN5torch10headeronly6detail27GenericPackedTensorAccessorINS8_14TensorAccessorINS3_8ArrayRefIlEET_Lm2ENS7_16DefaultPtrTraitsElEENS_6detail16IndexBoundsCheckILm3ElEESD_Lm3ESE_lEENS9_INSA_ISC_KSD_Lm2ESE_lEESI_SK_Lm3ESE_lEEiii.kd
    .uniform_work_group_size: 1
    .uses_dynamic_stack: false
    .vgpr_count:     11
    .vgpr_spill_count: 0
    .wavefront_size: 32
    .workgroup_processor_mode: 1
  - .args:
      - .offset:         0
        .size:           56
        .value_kind:     by_value
      - .offset:         56
        .size:           56
        .value_kind:     by_value
      - .offset:         112
        .size:           4
        .value_kind:     by_value
      - .offset:         116
        .size:           4
        .value_kind:     by_value
      - .offset:         120
        .size:           4
        .value_kind:     by_value
      - .offset:         128
        .size:           4
        .value_kind:     hidden_block_count_x
      - .offset:         132
        .size:           4
        .value_kind:     hidden_block_count_y
      - .offset:         136
        .size:           4
        .value_kind:     hidden_block_count_z
      - .offset:         140
        .size:           2
        .value_kind:     hidden_group_size_x
      - .offset:         142
        .size:           2
        .value_kind:     hidden_group_size_y
      - .offset:         144
        .size:           2
        .value_kind:     hidden_group_size_z
      - .offset:         146
        .size:           2
        .value_kind:     hidden_remainder_x
      - .offset:         148
        .size:           2
        .value_kind:     hidden_remainder_y
      - .offset:         150
        .size:           2
        .value_kind:     hidden_remainder_z
      - .offset:         168
        .size:           8
        .value_kind:     hidden_global_offset_x
      - .offset:         176
        .size:           8
        .value_kind:     hidden_global_offset_y
      - .offset:         184
        .size:           8
        .value_kind:     hidden_global_offset_z
      - .offset:         192
        .size:           2
        .value_kind:     hidden_grid_dims
    .group_segment_fixed_size: 0
    .kernarg_segment_align: 8
    .kernarg_segment_size: 384
    .language:       OpenCL C
    .language_version:
      - 2
      - 0
    .max_flat_workgroup_size: 1024
    .name:           _ZN2at6native12_GLOBAL__N_131replication_pad_backward_kernelIN3c107complexIfEEEEvN5torch10headeronly6detail27GenericPackedTensorAccessorINS8_14TensorAccessorINS3_8ArrayRefIlEET_Lm2ENS7_16DefaultPtrTraitsElEENS_6detail16IndexBoundsCheckILm3ElEESD_Lm3ESE_lEENS9_INSA_ISC_KSD_Lm2ESE_lEESI_SK_Lm3ESE_lEEiii
    .private_segment_fixed_size: 0
    .sgpr_count:     26
    .sgpr_spill_count: 0
    .symbol:         _ZN2at6native12_GLOBAL__N_131replication_pad_backward_kernelIN3c107complexIfEEEEvN5torch10headeronly6detail27GenericPackedTensorAccessorINS8_14TensorAccessorINS3_8ArrayRefIlEET_Lm2ENS7_16DefaultPtrTraitsElEENS_6detail16IndexBoundsCheckILm3ElEESD_Lm3ESE_lEENS9_INSA_ISC_KSD_Lm2ESE_lEESI_SK_Lm3ESE_lEEiii.kd
    .uniform_work_group_size: 1
    .uses_dynamic_stack: false
    .vgpr_count:     11
    .vgpr_spill_count: 0
    .wavefront_size: 32
    .workgroup_processor_mode: 1
  - .args:
      - .offset:         0
        .size:           56
        .value_kind:     by_value
      - .offset:         56
        .size:           56
        .value_kind:     by_value
      - .offset:         112
        .size:           4
        .value_kind:     by_value
      - .offset:         116
        .size:           4
        .value_kind:     by_value
      - .offset:         120
        .size:           4
        .value_kind:     by_value
      - .offset:         128
        .size:           4
        .value_kind:     hidden_block_count_x
      - .offset:         132
        .size:           4
        .value_kind:     hidden_block_count_y
      - .offset:         136
        .size:           4
        .value_kind:     hidden_block_count_z
      - .offset:         140
        .size:           2
        .value_kind:     hidden_group_size_x
      - .offset:         142
        .size:           2
        .value_kind:     hidden_group_size_y
      - .offset:         144
        .size:           2
        .value_kind:     hidden_group_size_z
      - .offset:         146
        .size:           2
        .value_kind:     hidden_remainder_x
      - .offset:         148
        .size:           2
        .value_kind:     hidden_remainder_y
      - .offset:         150
        .size:           2
        .value_kind:     hidden_remainder_z
      - .offset:         168
        .size:           8
        .value_kind:     hidden_global_offset_x
      - .offset:         176
        .size:           8
        .value_kind:     hidden_global_offset_y
      - .offset:         184
        .size:           8
        .value_kind:     hidden_global_offset_z
      - .offset:         192
        .size:           2
        .value_kind:     hidden_grid_dims
    .group_segment_fixed_size: 0
    .kernarg_segment_align: 8
    .kernarg_segment_size: 384
    .language:       OpenCL C
    .language_version:
      - 2
      - 0
    .max_flat_workgroup_size: 1024
    .name:           _ZN2at6native12_GLOBAL__N_131replication_pad_backward_kernelIN3c104HalfEEEvN5torch10headeronly6detail27GenericPackedTensorAccessorINS7_14TensorAccessorINS3_8ArrayRefIlEET_Lm2ENS6_16DefaultPtrTraitsElEENS_6detail16IndexBoundsCheckILm3ElEESC_Lm3ESD_lEENS8_INS9_ISB_KSC_Lm2ESD_lEESH_SJ_Lm3ESD_lEEiii
    .private_segment_fixed_size: 0
    .sgpr_count:     26
    .sgpr_spill_count: 0
    .symbol:         _ZN2at6native12_GLOBAL__N_131replication_pad_backward_kernelIN3c104HalfEEEvN5torch10headeronly6detail27GenericPackedTensorAccessorINS7_14TensorAccessorINS3_8ArrayRefIlEET_Lm2ENS6_16DefaultPtrTraitsElEENS_6detail16IndexBoundsCheckILm3ElEESC_Lm3ESD_lEENS8_INS9_ISB_KSC_Lm2ESD_lEESH_SJ_Lm3ESD_lEEiii.kd
    .uniform_work_group_size: 1
    .uses_dynamic_stack: false
    .vgpr_count:     11
    .vgpr_spill_count: 0
    .wavefront_size: 32
    .workgroup_processor_mode: 1
  - .args:
      - .offset:         0
        .size:           56
        .value_kind:     by_value
      - .offset:         56
        .size:           56
        .value_kind:     by_value
      - .offset:         112
        .size:           4
        .value_kind:     by_value
      - .offset:         116
        .size:           4
        .value_kind:     by_value
      - .offset:         120
        .size:           4
        .value_kind:     by_value
      - .offset:         128
        .size:           4
        .value_kind:     hidden_block_count_x
      - .offset:         132
        .size:           4
        .value_kind:     hidden_block_count_y
      - .offset:         136
        .size:           4
        .value_kind:     hidden_block_count_z
      - .offset:         140
        .size:           2
        .value_kind:     hidden_group_size_x
      - .offset:         142
        .size:           2
        .value_kind:     hidden_group_size_y
      - .offset:         144
        .size:           2
        .value_kind:     hidden_group_size_z
      - .offset:         146
        .size:           2
        .value_kind:     hidden_remainder_x
      - .offset:         148
        .size:           2
        .value_kind:     hidden_remainder_y
      - .offset:         150
        .size:           2
        .value_kind:     hidden_remainder_z
      - .offset:         168
        .size:           8
        .value_kind:     hidden_global_offset_x
      - .offset:         176
        .size:           8
        .value_kind:     hidden_global_offset_y
      - .offset:         184
        .size:           8
        .value_kind:     hidden_global_offset_z
      - .offset:         192
        .size:           2
        .value_kind:     hidden_grid_dims
    .group_segment_fixed_size: 0
    .kernarg_segment_align: 8
    .kernarg_segment_size: 384
    .language:       OpenCL C
    .language_version:
      - 2
      - 0
    .max_flat_workgroup_size: 1024
    .name:           _ZN2at6native12_GLOBAL__N_131replication_pad_backward_kernelIN3c108BFloat16EEEvN5torch10headeronly6detail27GenericPackedTensorAccessorINS7_14TensorAccessorINS3_8ArrayRefIlEET_Lm2ENS6_16DefaultPtrTraitsElEENS_6detail16IndexBoundsCheckILm3ElEESC_Lm3ESD_lEENS8_INS9_ISB_KSC_Lm2ESD_lEESH_SJ_Lm3ESD_lEEiii
    .private_segment_fixed_size: 0
    .sgpr_count:     26
    .sgpr_spill_count: 0
    .symbol:         _ZN2at6native12_GLOBAL__N_131replication_pad_backward_kernelIN3c108BFloat16EEEvN5torch10headeronly6detail27GenericPackedTensorAccessorINS7_14TensorAccessorINS3_8ArrayRefIlEET_Lm2ENS6_16DefaultPtrTraitsElEENS_6detail16IndexBoundsCheckILm3ElEESC_Lm3ESD_lEENS8_INS9_ISB_KSC_Lm2ESD_lEESH_SJ_Lm3ESD_lEEiii.kd
    .uniform_work_group_size: 1
    .uses_dynamic_stack: false
    .vgpr_count:     11
    .vgpr_spill_count: 0
    .wavefront_size: 32
    .workgroup_processor_mode: 1
  - .args:
      - .offset:         0
        .size:           72
        .value_kind:     by_value
      - .offset:         72
        .size:           72
        .value_kind:     by_value
      - .offset:         144
        .size:           4
        .value_kind:     by_value
      - .offset:         148
        .size:           4
        .value_kind:     by_value
      - .offset:         152
        .size:           4
        .value_kind:     by_value
      - .offset:         156
        .size:           4
        .value_kind:     by_value
      - .offset:         160
        .size:           4
        .value_kind:     hidden_block_count_x
      - .offset:         164
        .size:           4
        .value_kind:     hidden_block_count_y
      - .offset:         168
        .size:           4
        .value_kind:     hidden_block_count_z
      - .offset:         172
        .size:           2
        .value_kind:     hidden_group_size_x
      - .offset:         174
        .size:           2
        .value_kind:     hidden_group_size_y
      - .offset:         176
        .size:           2
        .value_kind:     hidden_group_size_z
      - .offset:         178
        .size:           2
        .value_kind:     hidden_remainder_x
      - .offset:         180
        .size:           2
        .value_kind:     hidden_remainder_y
      - .offset:         182
        .size:           2
        .value_kind:     hidden_remainder_z
      - .offset:         200
        .size:           8
        .value_kind:     hidden_global_offset_x
      - .offset:         208
        .size:           8
        .value_kind:     hidden_global_offset_y
      - .offset:         216
        .size:           8
        .value_kind:     hidden_global_offset_z
      - .offset:         224
        .size:           2
        .value_kind:     hidden_grid_dims
    .group_segment_fixed_size: 0
    .kernarg_segment_align: 8
    .kernarg_segment_size: 416
    .language:       OpenCL C
    .language_version:
      - 2
      - 0
    .max_flat_workgroup_size: 1024
    .name:           _ZN2at6native12_GLOBAL__N_132replication_pad_forward_kernel2dIhEEvN5torch10headeronly6detail27GenericPackedTensorAccessorINS5_14TensorAccessorIN3c108ArrayRefIlEEKT_Lm3ENS4_16DefaultPtrTraitsElEENS_6detail16IndexBoundsCheckILm4ElEESC_Lm4ESD_lEENS6_INS7_ISA_SB_Lm3ESD_lEESH_SB_Lm4ESD_lEEiiii
    .private_segment_fixed_size: 0
    .sgpr_count:     26
    .sgpr_spill_count: 0
    .symbol:         _ZN2at6native12_GLOBAL__N_132replication_pad_forward_kernel2dIhEEvN5torch10headeronly6detail27GenericPackedTensorAccessorINS5_14TensorAccessorIN3c108ArrayRefIlEEKT_Lm3ENS4_16DefaultPtrTraitsElEENS_6detail16IndexBoundsCheckILm4ElEESC_Lm4ESD_lEENS6_INS7_ISA_SB_Lm3ESD_lEESH_SB_Lm4ESD_lEEiiii.kd
    .uniform_work_group_size: 1
    .uses_dynamic_stack: false
    .vgpr_count:     14
    .vgpr_spill_count: 0
    .wavefront_size: 32
    .workgroup_processor_mode: 1
  - .args:
      - .offset:         0
        .size:           72
        .value_kind:     by_value
      - .offset:         72
        .size:           72
        .value_kind:     by_value
      - .offset:         144
        .size:           4
        .value_kind:     by_value
      - .offset:         148
        .size:           4
        .value_kind:     by_value
      - .offset:         152
        .size:           4
        .value_kind:     by_value
      - .offset:         156
        .size:           4
        .value_kind:     by_value
      - .offset:         160
        .size:           4
        .value_kind:     hidden_block_count_x
      - .offset:         164
        .size:           4
        .value_kind:     hidden_block_count_y
      - .offset:         168
        .size:           4
        .value_kind:     hidden_block_count_z
      - .offset:         172
        .size:           2
        .value_kind:     hidden_group_size_x
      - .offset:         174
        .size:           2
        .value_kind:     hidden_group_size_y
      - .offset:         176
        .size:           2
        .value_kind:     hidden_group_size_z
      - .offset:         178
        .size:           2
        .value_kind:     hidden_remainder_x
      - .offset:         180
        .size:           2
        .value_kind:     hidden_remainder_y
      - .offset:         182
        .size:           2
        .value_kind:     hidden_remainder_z
      - .offset:         200
        .size:           8
        .value_kind:     hidden_global_offset_x
      - .offset:         208
        .size:           8
        .value_kind:     hidden_global_offset_y
      - .offset:         216
        .size:           8
        .value_kind:     hidden_global_offset_z
      - .offset:         224
        .size:           2
        .value_kind:     hidden_grid_dims
    .group_segment_fixed_size: 0
    .kernarg_segment_align: 8
    .kernarg_segment_size: 416
    .language:       OpenCL C
    .language_version:
      - 2
      - 0
    .max_flat_workgroup_size: 1024
    .name:           _ZN2at6native12_GLOBAL__N_132replication_pad_forward_kernel2dIaEEvN5torch10headeronly6detail27GenericPackedTensorAccessorINS5_14TensorAccessorIN3c108ArrayRefIlEEKT_Lm3ENS4_16DefaultPtrTraitsElEENS_6detail16IndexBoundsCheckILm4ElEESC_Lm4ESD_lEENS6_INS7_ISA_SB_Lm3ESD_lEESH_SB_Lm4ESD_lEEiiii
    .private_segment_fixed_size: 0
    .sgpr_count:     26
    .sgpr_spill_count: 0
    .symbol:         _ZN2at6native12_GLOBAL__N_132replication_pad_forward_kernel2dIaEEvN5torch10headeronly6detail27GenericPackedTensorAccessorINS5_14TensorAccessorIN3c108ArrayRefIlEEKT_Lm3ENS4_16DefaultPtrTraitsElEENS_6detail16IndexBoundsCheckILm4ElEESC_Lm4ESD_lEENS6_INS7_ISA_SB_Lm3ESD_lEESH_SB_Lm4ESD_lEEiiii.kd
    .uniform_work_group_size: 1
    .uses_dynamic_stack: false
    .vgpr_count:     14
    .vgpr_spill_count: 0
    .wavefront_size: 32
    .workgroup_processor_mode: 1
  - .args:
      - .offset:         0
        .size:           72
        .value_kind:     by_value
      - .offset:         72
        .size:           72
        .value_kind:     by_value
      - .offset:         144
        .size:           4
        .value_kind:     by_value
      - .offset:         148
        .size:           4
        .value_kind:     by_value
      - .offset:         152
        .size:           4
        .value_kind:     by_value
      - .offset:         156
        .size:           4
        .value_kind:     by_value
      - .offset:         160
        .size:           4
        .value_kind:     hidden_block_count_x
      - .offset:         164
        .size:           4
        .value_kind:     hidden_block_count_y
      - .offset:         168
        .size:           4
        .value_kind:     hidden_block_count_z
      - .offset:         172
        .size:           2
        .value_kind:     hidden_group_size_x
      - .offset:         174
        .size:           2
        .value_kind:     hidden_group_size_y
      - .offset:         176
        .size:           2
        .value_kind:     hidden_group_size_z
      - .offset:         178
        .size:           2
        .value_kind:     hidden_remainder_x
      - .offset:         180
        .size:           2
        .value_kind:     hidden_remainder_y
      - .offset:         182
        .size:           2
        .value_kind:     hidden_remainder_z
      - .offset:         200
        .size:           8
        .value_kind:     hidden_global_offset_x
      - .offset:         208
        .size:           8
        .value_kind:     hidden_global_offset_y
      - .offset:         216
        .size:           8
        .value_kind:     hidden_global_offset_z
      - .offset:         224
        .size:           2
        .value_kind:     hidden_grid_dims
    .group_segment_fixed_size: 0
    .kernarg_segment_align: 8
    .kernarg_segment_size: 416
    .language:       OpenCL C
    .language_version:
      - 2
      - 0
    .max_flat_workgroup_size: 1024
    .name:           _ZN2at6native12_GLOBAL__N_132replication_pad_forward_kernel2dIiEEvN5torch10headeronly6detail27GenericPackedTensorAccessorINS5_14TensorAccessorIN3c108ArrayRefIlEEKT_Lm3ENS4_16DefaultPtrTraitsElEENS_6detail16IndexBoundsCheckILm4ElEESC_Lm4ESD_lEENS6_INS7_ISA_SB_Lm3ESD_lEESH_SB_Lm4ESD_lEEiiii
    .private_segment_fixed_size: 0
    .sgpr_count:     26
    .sgpr_spill_count: 0
    .symbol:         _ZN2at6native12_GLOBAL__N_132replication_pad_forward_kernel2dIiEEvN5torch10headeronly6detail27GenericPackedTensorAccessorINS5_14TensorAccessorIN3c108ArrayRefIlEEKT_Lm3ENS4_16DefaultPtrTraitsElEENS_6detail16IndexBoundsCheckILm4ElEESC_Lm4ESD_lEENS6_INS7_ISA_SB_Lm3ESD_lEESH_SB_Lm4ESD_lEEiiii.kd
    .uniform_work_group_size: 1
    .uses_dynamic_stack: false
    .vgpr_count:     14
    .vgpr_spill_count: 0
    .wavefront_size: 32
    .workgroup_processor_mode: 1
  - .args:
      - .offset:         0
        .size:           72
        .value_kind:     by_value
      - .offset:         72
        .size:           72
        .value_kind:     by_value
      - .offset:         144
        .size:           4
        .value_kind:     by_value
      - .offset:         148
        .size:           4
        .value_kind:     by_value
      - .offset:         152
        .size:           4
        .value_kind:     by_value
      - .offset:         156
        .size:           4
        .value_kind:     by_value
      - .offset:         160
        .size:           4
        .value_kind:     hidden_block_count_x
      - .offset:         164
        .size:           4
        .value_kind:     hidden_block_count_y
      - .offset:         168
        .size:           4
        .value_kind:     hidden_block_count_z
      - .offset:         172
        .size:           2
        .value_kind:     hidden_group_size_x
      - .offset:         174
        .size:           2
        .value_kind:     hidden_group_size_y
      - .offset:         176
        .size:           2
        .value_kind:     hidden_group_size_z
      - .offset:         178
        .size:           2
        .value_kind:     hidden_remainder_x
      - .offset:         180
        .size:           2
        .value_kind:     hidden_remainder_y
      - .offset:         182
        .size:           2
        .value_kind:     hidden_remainder_z
      - .offset:         200
        .size:           8
        .value_kind:     hidden_global_offset_x
      - .offset:         208
        .size:           8
        .value_kind:     hidden_global_offset_y
      - .offset:         216
        .size:           8
        .value_kind:     hidden_global_offset_z
      - .offset:         224
        .size:           2
        .value_kind:     hidden_grid_dims
    .group_segment_fixed_size: 0
    .kernarg_segment_align: 8
    .kernarg_segment_size: 416
    .language:       OpenCL C
    .language_version:
      - 2
      - 0
    .max_flat_workgroup_size: 1024
    .name:           _ZN2at6native12_GLOBAL__N_132replication_pad_forward_kernel2dIlEEvN5torch10headeronly6detail27GenericPackedTensorAccessorINS5_14TensorAccessorIN3c108ArrayRefIlEEKT_Lm3ENS4_16DefaultPtrTraitsElEENS_6detail16IndexBoundsCheckILm4ElEESC_Lm4ESD_lEENS6_INS7_ISA_SB_Lm3ESD_lEESH_SB_Lm4ESD_lEEiiii
    .private_segment_fixed_size: 0
    .sgpr_count:     26
    .sgpr_spill_count: 0
    .symbol:         _ZN2at6native12_GLOBAL__N_132replication_pad_forward_kernel2dIlEEvN5torch10headeronly6detail27GenericPackedTensorAccessorINS5_14TensorAccessorIN3c108ArrayRefIlEEKT_Lm3ENS4_16DefaultPtrTraitsElEENS_6detail16IndexBoundsCheckILm4ElEESC_Lm4ESD_lEENS6_INS7_ISA_SB_Lm3ESD_lEESH_SB_Lm4ESD_lEEiiii.kd
    .uniform_work_group_size: 1
    .uses_dynamic_stack: false
    .vgpr_count:     14
    .vgpr_spill_count: 0
    .wavefront_size: 32
    .workgroup_processor_mode: 1
  - .args:
      - .offset:         0
        .size:           72
        .value_kind:     by_value
      - .offset:         72
        .size:           72
        .value_kind:     by_value
      - .offset:         144
        .size:           4
        .value_kind:     by_value
      - .offset:         148
        .size:           4
        .value_kind:     by_value
      - .offset:         152
        .size:           4
        .value_kind:     by_value
      - .offset:         156
        .size:           4
        .value_kind:     by_value
      - .offset:         160
        .size:           4
        .value_kind:     hidden_block_count_x
      - .offset:         164
        .size:           4
        .value_kind:     hidden_block_count_y
      - .offset:         168
        .size:           4
        .value_kind:     hidden_block_count_z
      - .offset:         172
        .size:           2
        .value_kind:     hidden_group_size_x
      - .offset:         174
        .size:           2
        .value_kind:     hidden_group_size_y
      - .offset:         176
        .size:           2
        .value_kind:     hidden_group_size_z
      - .offset:         178
        .size:           2
        .value_kind:     hidden_remainder_x
      - .offset:         180
        .size:           2
        .value_kind:     hidden_remainder_y
      - .offset:         182
        .size:           2
        .value_kind:     hidden_remainder_z
      - .offset:         200
        .size:           8
        .value_kind:     hidden_global_offset_x
      - .offset:         208
        .size:           8
        .value_kind:     hidden_global_offset_y
      - .offset:         216
        .size:           8
        .value_kind:     hidden_global_offset_z
      - .offset:         224
        .size:           2
        .value_kind:     hidden_grid_dims
    .group_segment_fixed_size: 0
    .kernarg_segment_align: 8
    .kernarg_segment_size: 416
    .language:       OpenCL C
    .language_version:
      - 2
      - 0
    .max_flat_workgroup_size: 1024
    .name:           _ZN2at6native12_GLOBAL__N_132replication_pad_forward_kernel2dIsEEvN5torch10headeronly6detail27GenericPackedTensorAccessorINS5_14TensorAccessorIN3c108ArrayRefIlEEKT_Lm3ENS4_16DefaultPtrTraitsElEENS_6detail16IndexBoundsCheckILm4ElEESC_Lm4ESD_lEENS6_INS7_ISA_SB_Lm3ESD_lEESH_SB_Lm4ESD_lEEiiii
    .private_segment_fixed_size: 0
    .sgpr_count:     26
    .sgpr_spill_count: 0
    .symbol:         _ZN2at6native12_GLOBAL__N_132replication_pad_forward_kernel2dIsEEvN5torch10headeronly6detail27GenericPackedTensorAccessorINS5_14TensorAccessorIN3c108ArrayRefIlEEKT_Lm3ENS4_16DefaultPtrTraitsElEENS_6detail16IndexBoundsCheckILm4ElEESC_Lm4ESD_lEENS6_INS7_ISA_SB_Lm3ESD_lEESH_SB_Lm4ESD_lEEiiii.kd
    .uniform_work_group_size: 1
    .uses_dynamic_stack: false
    .vgpr_count:     14
    .vgpr_spill_count: 0
    .wavefront_size: 32
    .workgroup_processor_mode: 1
  - .args:
      - .offset:         0
        .size:           72
        .value_kind:     by_value
      - .offset:         72
        .size:           72
        .value_kind:     by_value
      - .offset:         144
        .size:           4
        .value_kind:     by_value
      - .offset:         148
        .size:           4
        .value_kind:     by_value
      - .offset:         152
        .size:           4
        .value_kind:     by_value
      - .offset:         156
        .size:           4
        .value_kind:     by_value
      - .offset:         160
        .size:           4
        .value_kind:     hidden_block_count_x
      - .offset:         164
        .size:           4
        .value_kind:     hidden_block_count_y
      - .offset:         168
        .size:           4
        .value_kind:     hidden_block_count_z
      - .offset:         172
        .size:           2
        .value_kind:     hidden_group_size_x
      - .offset:         174
        .size:           2
        .value_kind:     hidden_group_size_y
      - .offset:         176
        .size:           2
        .value_kind:     hidden_group_size_z
      - .offset:         178
        .size:           2
        .value_kind:     hidden_remainder_x
      - .offset:         180
        .size:           2
        .value_kind:     hidden_remainder_y
      - .offset:         182
        .size:           2
        .value_kind:     hidden_remainder_z
      - .offset:         200
        .size:           8
        .value_kind:     hidden_global_offset_x
      - .offset:         208
        .size:           8
        .value_kind:     hidden_global_offset_y
      - .offset:         216
        .size:           8
        .value_kind:     hidden_global_offset_z
      - .offset:         224
        .size:           2
        .value_kind:     hidden_grid_dims
    .group_segment_fixed_size: 0
    .kernarg_segment_align: 8
    .kernarg_segment_size: 416
    .language:       OpenCL C
    .language_version:
      - 2
      - 0
    .max_flat_workgroup_size: 1024
    .name:           _ZN2at6native12_GLOBAL__N_132replication_pad_forward_kernel2dIdEEvN5torch10headeronly6detail27GenericPackedTensorAccessorINS5_14TensorAccessorIN3c108ArrayRefIlEEKT_Lm3ENS4_16DefaultPtrTraitsElEENS_6detail16IndexBoundsCheckILm4ElEESC_Lm4ESD_lEENS6_INS7_ISA_SB_Lm3ESD_lEESH_SB_Lm4ESD_lEEiiii
    .private_segment_fixed_size: 0
    .sgpr_count:     26
    .sgpr_spill_count: 0
    .symbol:         _ZN2at6native12_GLOBAL__N_132replication_pad_forward_kernel2dIdEEvN5torch10headeronly6detail27GenericPackedTensorAccessorINS5_14TensorAccessorIN3c108ArrayRefIlEEKT_Lm3ENS4_16DefaultPtrTraitsElEENS_6detail16IndexBoundsCheckILm4ElEESC_Lm4ESD_lEENS6_INS7_ISA_SB_Lm3ESD_lEESH_SB_Lm4ESD_lEEiiii.kd
    .uniform_work_group_size: 1
    .uses_dynamic_stack: false
    .vgpr_count:     14
    .vgpr_spill_count: 0
    .wavefront_size: 32
    .workgroup_processor_mode: 1
  - .args:
      - .offset:         0
        .size:           72
        .value_kind:     by_value
      - .offset:         72
        .size:           72
        .value_kind:     by_value
      - .offset:         144
        .size:           4
        .value_kind:     by_value
      - .offset:         148
        .size:           4
        .value_kind:     by_value
      - .offset:         152
        .size:           4
        .value_kind:     by_value
      - .offset:         156
        .size:           4
        .value_kind:     by_value
      - .offset:         160
        .size:           4
        .value_kind:     hidden_block_count_x
      - .offset:         164
        .size:           4
        .value_kind:     hidden_block_count_y
      - .offset:         168
        .size:           4
        .value_kind:     hidden_block_count_z
      - .offset:         172
        .size:           2
        .value_kind:     hidden_group_size_x
      - .offset:         174
        .size:           2
        .value_kind:     hidden_group_size_y
      - .offset:         176
        .size:           2
        .value_kind:     hidden_group_size_z
      - .offset:         178
        .size:           2
        .value_kind:     hidden_remainder_x
      - .offset:         180
        .size:           2
        .value_kind:     hidden_remainder_y
      - .offset:         182
        .size:           2
        .value_kind:     hidden_remainder_z
      - .offset:         200
        .size:           8
        .value_kind:     hidden_global_offset_x
      - .offset:         208
        .size:           8
        .value_kind:     hidden_global_offset_y
      - .offset:         216
        .size:           8
        .value_kind:     hidden_global_offset_z
      - .offset:         224
        .size:           2
        .value_kind:     hidden_grid_dims
    .group_segment_fixed_size: 0
    .kernarg_segment_align: 8
    .kernarg_segment_size: 416
    .language:       OpenCL C
    .language_version:
      - 2
      - 0
    .max_flat_workgroup_size: 1024
    .name:           _ZN2at6native12_GLOBAL__N_132replication_pad_forward_kernel2dIfEEvN5torch10headeronly6detail27GenericPackedTensorAccessorINS5_14TensorAccessorIN3c108ArrayRefIlEEKT_Lm3ENS4_16DefaultPtrTraitsElEENS_6detail16IndexBoundsCheckILm4ElEESC_Lm4ESD_lEENS6_INS7_ISA_SB_Lm3ESD_lEESH_SB_Lm4ESD_lEEiiii
    .private_segment_fixed_size: 0
    .sgpr_count:     26
    .sgpr_spill_count: 0
    .symbol:         _ZN2at6native12_GLOBAL__N_132replication_pad_forward_kernel2dIfEEvN5torch10headeronly6detail27GenericPackedTensorAccessorINS5_14TensorAccessorIN3c108ArrayRefIlEEKT_Lm3ENS4_16DefaultPtrTraitsElEENS_6detail16IndexBoundsCheckILm4ElEESC_Lm4ESD_lEENS6_INS7_ISA_SB_Lm3ESD_lEESH_SB_Lm4ESD_lEEiiii.kd
    .uniform_work_group_size: 1
    .uses_dynamic_stack: false
    .vgpr_count:     14
    .vgpr_spill_count: 0
    .wavefront_size: 32
    .workgroup_processor_mode: 1
  - .args:
      - .offset:         0
        .size:           72
        .value_kind:     by_value
      - .offset:         72
        .size:           72
        .value_kind:     by_value
      - .offset:         144
        .size:           4
        .value_kind:     by_value
      - .offset:         148
        .size:           4
        .value_kind:     by_value
      - .offset:         152
        .size:           4
        .value_kind:     by_value
      - .offset:         156
        .size:           4
        .value_kind:     by_value
      - .offset:         160
        .size:           4
        .value_kind:     hidden_block_count_x
      - .offset:         164
        .size:           4
        .value_kind:     hidden_block_count_y
      - .offset:         168
        .size:           4
        .value_kind:     hidden_block_count_z
      - .offset:         172
        .size:           2
        .value_kind:     hidden_group_size_x
      - .offset:         174
        .size:           2
        .value_kind:     hidden_group_size_y
      - .offset:         176
        .size:           2
        .value_kind:     hidden_group_size_z
      - .offset:         178
        .size:           2
        .value_kind:     hidden_remainder_x
      - .offset:         180
        .size:           2
        .value_kind:     hidden_remainder_y
      - .offset:         182
        .size:           2
        .value_kind:     hidden_remainder_z
      - .offset:         200
        .size:           8
        .value_kind:     hidden_global_offset_x
      - .offset:         208
        .size:           8
        .value_kind:     hidden_global_offset_y
      - .offset:         216
        .size:           8
        .value_kind:     hidden_global_offset_z
      - .offset:         224
        .size:           2
        .value_kind:     hidden_grid_dims
    .group_segment_fixed_size: 0
    .kernarg_segment_align: 8
    .kernarg_segment_size: 416
    .language:       OpenCL C
    .language_version:
      - 2
      - 0
    .max_flat_workgroup_size: 1024
    .name:           _ZN2at6native12_GLOBAL__N_132replication_pad_forward_kernel2dIN3c107complexIdEEEEvN5torch10headeronly6detail27GenericPackedTensorAccessorINS8_14TensorAccessorINS3_8ArrayRefIlEEKT_Lm3ENS7_16DefaultPtrTraitsElEENS_6detail16IndexBoundsCheckILm4ElEESE_Lm4ESF_lEENS9_INSA_ISC_SD_Lm3ESF_lEESJ_SD_Lm4ESF_lEEiiii
    .private_segment_fixed_size: 0
    .sgpr_count:     26
    .sgpr_spill_count: 0
    .symbol:         _ZN2at6native12_GLOBAL__N_132replication_pad_forward_kernel2dIN3c107complexIdEEEEvN5torch10headeronly6detail27GenericPackedTensorAccessorINS8_14TensorAccessorINS3_8ArrayRefIlEEKT_Lm3ENS7_16DefaultPtrTraitsElEENS_6detail16IndexBoundsCheckILm4ElEESE_Lm4ESF_lEENS9_INSA_ISC_SD_Lm3ESF_lEESJ_SD_Lm4ESF_lEEiiii.kd
    .uniform_work_group_size: 1
    .uses_dynamic_stack: false
    .vgpr_count:     14
    .vgpr_spill_count: 0
    .wavefront_size: 32
    .workgroup_processor_mode: 1
  - .args:
      - .offset:         0
        .size:           72
        .value_kind:     by_value
      - .offset:         72
        .size:           72
        .value_kind:     by_value
      - .offset:         144
        .size:           4
        .value_kind:     by_value
      - .offset:         148
        .size:           4
        .value_kind:     by_value
      - .offset:         152
        .size:           4
        .value_kind:     by_value
      - .offset:         156
        .size:           4
        .value_kind:     by_value
      - .offset:         160
        .size:           4
        .value_kind:     hidden_block_count_x
      - .offset:         164
        .size:           4
        .value_kind:     hidden_block_count_y
      - .offset:         168
        .size:           4
        .value_kind:     hidden_block_count_z
      - .offset:         172
        .size:           2
        .value_kind:     hidden_group_size_x
      - .offset:         174
        .size:           2
        .value_kind:     hidden_group_size_y
      - .offset:         176
        .size:           2
        .value_kind:     hidden_group_size_z
      - .offset:         178
        .size:           2
        .value_kind:     hidden_remainder_x
      - .offset:         180
        .size:           2
        .value_kind:     hidden_remainder_y
      - .offset:         182
        .size:           2
        .value_kind:     hidden_remainder_z
      - .offset:         200
        .size:           8
        .value_kind:     hidden_global_offset_x
      - .offset:         208
        .size:           8
        .value_kind:     hidden_global_offset_y
      - .offset:         216
        .size:           8
        .value_kind:     hidden_global_offset_z
      - .offset:         224
        .size:           2
        .value_kind:     hidden_grid_dims
    .group_segment_fixed_size: 0
    .kernarg_segment_align: 8
    .kernarg_segment_size: 416
    .language:       OpenCL C
    .language_version:
      - 2
      - 0
    .max_flat_workgroup_size: 1024
    .name:           _ZN2at6native12_GLOBAL__N_132replication_pad_forward_kernel2dIN3c107complexIfEEEEvN5torch10headeronly6detail27GenericPackedTensorAccessorINS8_14TensorAccessorINS3_8ArrayRefIlEEKT_Lm3ENS7_16DefaultPtrTraitsElEENS_6detail16IndexBoundsCheckILm4ElEESE_Lm4ESF_lEENS9_INSA_ISC_SD_Lm3ESF_lEESJ_SD_Lm4ESF_lEEiiii
    .private_segment_fixed_size: 0
    .sgpr_count:     26
    .sgpr_spill_count: 0
    .symbol:         _ZN2at6native12_GLOBAL__N_132replication_pad_forward_kernel2dIN3c107complexIfEEEEvN5torch10headeronly6detail27GenericPackedTensorAccessorINS8_14TensorAccessorINS3_8ArrayRefIlEEKT_Lm3ENS7_16DefaultPtrTraitsElEENS_6detail16IndexBoundsCheckILm4ElEESE_Lm4ESF_lEENS9_INSA_ISC_SD_Lm3ESF_lEESJ_SD_Lm4ESF_lEEiiii.kd
    .uniform_work_group_size: 1
    .uses_dynamic_stack: false
    .vgpr_count:     14
    .vgpr_spill_count: 0
    .wavefront_size: 32
    .workgroup_processor_mode: 1
  - .args:
      - .offset:         0
        .size:           72
        .value_kind:     by_value
      - .offset:         72
        .size:           72
        .value_kind:     by_value
      - .offset:         144
        .size:           4
        .value_kind:     by_value
      - .offset:         148
        .size:           4
        .value_kind:     by_value
      - .offset:         152
        .size:           4
        .value_kind:     by_value
      - .offset:         156
        .size:           4
        .value_kind:     by_value
      - .offset:         160
        .size:           4
        .value_kind:     hidden_block_count_x
      - .offset:         164
        .size:           4
        .value_kind:     hidden_block_count_y
      - .offset:         168
        .size:           4
        .value_kind:     hidden_block_count_z
      - .offset:         172
        .size:           2
        .value_kind:     hidden_group_size_x
      - .offset:         174
        .size:           2
        .value_kind:     hidden_group_size_y
      - .offset:         176
        .size:           2
        .value_kind:     hidden_group_size_z
      - .offset:         178
        .size:           2
        .value_kind:     hidden_remainder_x
      - .offset:         180
        .size:           2
        .value_kind:     hidden_remainder_y
      - .offset:         182
        .size:           2
        .value_kind:     hidden_remainder_z
      - .offset:         200
        .size:           8
        .value_kind:     hidden_global_offset_x
      - .offset:         208
        .size:           8
        .value_kind:     hidden_global_offset_y
      - .offset:         216
        .size:           8
        .value_kind:     hidden_global_offset_z
      - .offset:         224
        .size:           2
        .value_kind:     hidden_grid_dims
    .group_segment_fixed_size: 0
    .kernarg_segment_align: 8
    .kernarg_segment_size: 416
    .language:       OpenCL C
    .language_version:
      - 2
      - 0
    .max_flat_workgroup_size: 1024
    .name:           _ZN2at6native12_GLOBAL__N_132replication_pad_forward_kernel2dIN3c104HalfEEEvN5torch10headeronly6detail27GenericPackedTensorAccessorINS7_14TensorAccessorINS3_8ArrayRefIlEEKT_Lm3ENS6_16DefaultPtrTraitsElEENS_6detail16IndexBoundsCheckILm4ElEESD_Lm4ESE_lEENS8_INS9_ISB_SC_Lm3ESE_lEESI_SC_Lm4ESE_lEEiiii
    .private_segment_fixed_size: 0
    .sgpr_count:     26
    .sgpr_spill_count: 0
    .symbol:         _ZN2at6native12_GLOBAL__N_132replication_pad_forward_kernel2dIN3c104HalfEEEvN5torch10headeronly6detail27GenericPackedTensorAccessorINS7_14TensorAccessorINS3_8ArrayRefIlEEKT_Lm3ENS6_16DefaultPtrTraitsElEENS_6detail16IndexBoundsCheckILm4ElEESD_Lm4ESE_lEENS8_INS9_ISB_SC_Lm3ESE_lEESI_SC_Lm4ESE_lEEiiii.kd
    .uniform_work_group_size: 1
    .uses_dynamic_stack: false
    .vgpr_count:     14
    .vgpr_spill_count: 0
    .wavefront_size: 32
    .workgroup_processor_mode: 1
  - .args:
      - .offset:         0
        .size:           72
        .value_kind:     by_value
      - .offset:         72
        .size:           72
        .value_kind:     by_value
      - .offset:         144
        .size:           4
        .value_kind:     by_value
      - .offset:         148
        .size:           4
        .value_kind:     by_value
      - .offset:         152
        .size:           4
        .value_kind:     by_value
      - .offset:         156
        .size:           4
        .value_kind:     by_value
      - .offset:         160
        .size:           4
        .value_kind:     hidden_block_count_x
      - .offset:         164
        .size:           4
        .value_kind:     hidden_block_count_y
      - .offset:         168
        .size:           4
        .value_kind:     hidden_block_count_z
      - .offset:         172
        .size:           2
        .value_kind:     hidden_group_size_x
      - .offset:         174
        .size:           2
        .value_kind:     hidden_group_size_y
      - .offset:         176
        .size:           2
        .value_kind:     hidden_group_size_z
      - .offset:         178
        .size:           2
        .value_kind:     hidden_remainder_x
      - .offset:         180
        .size:           2
        .value_kind:     hidden_remainder_y
      - .offset:         182
        .size:           2
        .value_kind:     hidden_remainder_z
      - .offset:         200
        .size:           8
        .value_kind:     hidden_global_offset_x
      - .offset:         208
        .size:           8
        .value_kind:     hidden_global_offset_y
      - .offset:         216
        .size:           8
        .value_kind:     hidden_global_offset_z
      - .offset:         224
        .size:           2
        .value_kind:     hidden_grid_dims
    .group_segment_fixed_size: 0
    .kernarg_segment_align: 8
    .kernarg_segment_size: 416
    .language:       OpenCL C
    .language_version:
      - 2
      - 0
    .max_flat_workgroup_size: 1024
    .name:           _ZN2at6native12_GLOBAL__N_132replication_pad_forward_kernel2dIN3c108BFloat16EEEvN5torch10headeronly6detail27GenericPackedTensorAccessorINS7_14TensorAccessorINS3_8ArrayRefIlEEKT_Lm3ENS6_16DefaultPtrTraitsElEENS_6detail16IndexBoundsCheckILm4ElEESD_Lm4ESE_lEENS8_INS9_ISB_SC_Lm3ESE_lEESI_SC_Lm4ESE_lEEiiii
    .private_segment_fixed_size: 0
    .sgpr_count:     26
    .sgpr_spill_count: 0
    .symbol:         _ZN2at6native12_GLOBAL__N_132replication_pad_forward_kernel2dIN3c108BFloat16EEEvN5torch10headeronly6detail27GenericPackedTensorAccessorINS7_14TensorAccessorINS3_8ArrayRefIlEEKT_Lm3ENS6_16DefaultPtrTraitsElEENS_6detail16IndexBoundsCheckILm4ElEESD_Lm4ESE_lEENS8_INS9_ISB_SC_Lm3ESE_lEESI_SC_Lm4ESE_lEEiiii.kd
    .uniform_work_group_size: 1
    .uses_dynamic_stack: false
    .vgpr_count:     14
    .vgpr_spill_count: 0
    .wavefront_size: 32
    .workgroup_processor_mode: 1
  - .args:
      - .offset:         0
        .size:           88
        .value_kind:     by_value
      - .offset:         88
        .size:           88
        .value_kind:     by_value
      - .offset:         176
        .size:           4
        .value_kind:     by_value
      - .offset:         180
        .size:           4
        .value_kind:     by_value
      - .offset:         184
        .size:           4
        .value_kind:     by_value
      - .offset:         188
        .size:           4
        .value_kind:     by_value
      - .offset:         192
        .size:           4
        .value_kind:     by_value
      - .offset:         200
        .size:           4
        .value_kind:     hidden_block_count_x
      - .offset:         204
        .size:           4
        .value_kind:     hidden_block_count_y
      - .offset:         208
        .size:           4
        .value_kind:     hidden_block_count_z
      - .offset:         212
        .size:           2
        .value_kind:     hidden_group_size_x
      - .offset:         214
        .size:           2
        .value_kind:     hidden_group_size_y
      - .offset:         216
        .size:           2
        .value_kind:     hidden_group_size_z
      - .offset:         218
        .size:           2
        .value_kind:     hidden_remainder_x
      - .offset:         220
        .size:           2
        .value_kind:     hidden_remainder_y
      - .offset:         222
        .size:           2
        .value_kind:     hidden_remainder_z
      - .offset:         240
        .size:           8
        .value_kind:     hidden_global_offset_x
      - .offset:         248
        .size:           8
        .value_kind:     hidden_global_offset_y
      - .offset:         256
        .size:           8
        .value_kind:     hidden_global_offset_z
      - .offset:         264
        .size:           2
        .value_kind:     hidden_grid_dims
    .group_segment_fixed_size: 0
    .kernarg_segment_align: 8
    .kernarg_segment_size: 456
    .language:       OpenCL C
    .language_version:
      - 2
      - 0
    .max_flat_workgroup_size: 1024
    .name:           _ZN2at6native12_GLOBAL__N_132replication_pad_forward_kernel3dIhEEvN5torch10headeronly6detail27GenericPackedTensorAccessorINS5_14TensorAccessorIN3c108ArrayRefIlEEKT_Lm4ENS4_16DefaultPtrTraitsElEENS_6detail16IndexBoundsCheckILm5ElEESC_Lm5ESD_lEENS6_INS7_ISA_SB_Lm4ESD_lEESH_SB_Lm5ESD_lEEiiiii
    .private_segment_fixed_size: 0
    .sgpr_count:     34
    .sgpr_spill_count: 0
    .symbol:         _ZN2at6native12_GLOBAL__N_132replication_pad_forward_kernel3dIhEEvN5torch10headeronly6detail27GenericPackedTensorAccessorINS5_14TensorAccessorIN3c108ArrayRefIlEEKT_Lm4ENS4_16DefaultPtrTraitsElEENS_6detail16IndexBoundsCheckILm5ElEESC_Lm5ESD_lEENS6_INS7_ISA_SB_Lm4ESD_lEESH_SB_Lm5ESD_lEEiiiii.kd
    .uniform_work_group_size: 1
    .uses_dynamic_stack: false
    .vgpr_count:     17
    .vgpr_spill_count: 0
    .wavefront_size: 32
    .workgroup_processor_mode: 1
  - .args:
      - .offset:         0
        .size:           88
        .value_kind:     by_value
      - .offset:         88
        .size:           88
        .value_kind:     by_value
      - .offset:         176
        .size:           4
        .value_kind:     by_value
      - .offset:         180
        .size:           4
        .value_kind:     by_value
      - .offset:         184
        .size:           4
        .value_kind:     by_value
      - .offset:         188
        .size:           4
        .value_kind:     by_value
      - .offset:         192
        .size:           4
        .value_kind:     by_value
      - .offset:         200
        .size:           4
        .value_kind:     hidden_block_count_x
      - .offset:         204
        .size:           4
        .value_kind:     hidden_block_count_y
      - .offset:         208
        .size:           4
        .value_kind:     hidden_block_count_z
      - .offset:         212
        .size:           2
        .value_kind:     hidden_group_size_x
      - .offset:         214
        .size:           2
        .value_kind:     hidden_group_size_y
      - .offset:         216
        .size:           2
        .value_kind:     hidden_group_size_z
      - .offset:         218
        .size:           2
        .value_kind:     hidden_remainder_x
      - .offset:         220
        .size:           2
        .value_kind:     hidden_remainder_y
      - .offset:         222
        .size:           2
        .value_kind:     hidden_remainder_z
      - .offset:         240
        .size:           8
        .value_kind:     hidden_global_offset_x
      - .offset:         248
        .size:           8
        .value_kind:     hidden_global_offset_y
      - .offset:         256
        .size:           8
        .value_kind:     hidden_global_offset_z
      - .offset:         264
        .size:           2
        .value_kind:     hidden_grid_dims
    .group_segment_fixed_size: 0
    .kernarg_segment_align: 8
    .kernarg_segment_size: 456
    .language:       OpenCL C
    .language_version:
      - 2
      - 0
    .max_flat_workgroup_size: 1024
    .name:           _ZN2at6native12_GLOBAL__N_132replication_pad_forward_kernel3dIaEEvN5torch10headeronly6detail27GenericPackedTensorAccessorINS5_14TensorAccessorIN3c108ArrayRefIlEEKT_Lm4ENS4_16DefaultPtrTraitsElEENS_6detail16IndexBoundsCheckILm5ElEESC_Lm5ESD_lEENS6_INS7_ISA_SB_Lm4ESD_lEESH_SB_Lm5ESD_lEEiiiii
    .private_segment_fixed_size: 0
    .sgpr_count:     34
    .sgpr_spill_count: 0
    .symbol:         _ZN2at6native12_GLOBAL__N_132replication_pad_forward_kernel3dIaEEvN5torch10headeronly6detail27GenericPackedTensorAccessorINS5_14TensorAccessorIN3c108ArrayRefIlEEKT_Lm4ENS4_16DefaultPtrTraitsElEENS_6detail16IndexBoundsCheckILm5ElEESC_Lm5ESD_lEENS6_INS7_ISA_SB_Lm4ESD_lEESH_SB_Lm5ESD_lEEiiiii.kd
    .uniform_work_group_size: 1
    .uses_dynamic_stack: false
    .vgpr_count:     17
    .vgpr_spill_count: 0
    .wavefront_size: 32
    .workgroup_processor_mode: 1
  - .args:
      - .offset:         0
        .size:           88
        .value_kind:     by_value
      - .offset:         88
        .size:           88
        .value_kind:     by_value
      - .offset:         176
        .size:           4
        .value_kind:     by_value
      - .offset:         180
        .size:           4
        .value_kind:     by_value
      - .offset:         184
        .size:           4
        .value_kind:     by_value
      - .offset:         188
        .size:           4
        .value_kind:     by_value
      - .offset:         192
        .size:           4
        .value_kind:     by_value
      - .offset:         200
        .size:           4
        .value_kind:     hidden_block_count_x
      - .offset:         204
        .size:           4
        .value_kind:     hidden_block_count_y
      - .offset:         208
        .size:           4
        .value_kind:     hidden_block_count_z
      - .offset:         212
        .size:           2
        .value_kind:     hidden_group_size_x
      - .offset:         214
        .size:           2
        .value_kind:     hidden_group_size_y
      - .offset:         216
        .size:           2
        .value_kind:     hidden_group_size_z
      - .offset:         218
        .size:           2
        .value_kind:     hidden_remainder_x
      - .offset:         220
        .size:           2
        .value_kind:     hidden_remainder_y
      - .offset:         222
        .size:           2
        .value_kind:     hidden_remainder_z
      - .offset:         240
        .size:           8
        .value_kind:     hidden_global_offset_x
      - .offset:         248
        .size:           8
        .value_kind:     hidden_global_offset_y
      - .offset:         256
        .size:           8
        .value_kind:     hidden_global_offset_z
      - .offset:         264
        .size:           2
        .value_kind:     hidden_grid_dims
    .group_segment_fixed_size: 0
    .kernarg_segment_align: 8
    .kernarg_segment_size: 456
    .language:       OpenCL C
    .language_version:
      - 2
      - 0
    .max_flat_workgroup_size: 1024
    .name:           _ZN2at6native12_GLOBAL__N_132replication_pad_forward_kernel3dIiEEvN5torch10headeronly6detail27GenericPackedTensorAccessorINS5_14TensorAccessorIN3c108ArrayRefIlEEKT_Lm4ENS4_16DefaultPtrTraitsElEENS_6detail16IndexBoundsCheckILm5ElEESC_Lm5ESD_lEENS6_INS7_ISA_SB_Lm4ESD_lEESH_SB_Lm5ESD_lEEiiiii
    .private_segment_fixed_size: 0
    .sgpr_count:     34
    .sgpr_spill_count: 0
    .symbol:         _ZN2at6native12_GLOBAL__N_132replication_pad_forward_kernel3dIiEEvN5torch10headeronly6detail27GenericPackedTensorAccessorINS5_14TensorAccessorIN3c108ArrayRefIlEEKT_Lm4ENS4_16DefaultPtrTraitsElEENS_6detail16IndexBoundsCheckILm5ElEESC_Lm5ESD_lEENS6_INS7_ISA_SB_Lm4ESD_lEESH_SB_Lm5ESD_lEEiiiii.kd
    .uniform_work_group_size: 1
    .uses_dynamic_stack: false
    .vgpr_count:     17
    .vgpr_spill_count: 0
    .wavefront_size: 32
    .workgroup_processor_mode: 1
  - .args:
      - .offset:         0
        .size:           88
        .value_kind:     by_value
      - .offset:         88
        .size:           88
        .value_kind:     by_value
      - .offset:         176
        .size:           4
        .value_kind:     by_value
      - .offset:         180
        .size:           4
        .value_kind:     by_value
      - .offset:         184
        .size:           4
        .value_kind:     by_value
      - .offset:         188
        .size:           4
        .value_kind:     by_value
      - .offset:         192
        .size:           4
        .value_kind:     by_value
      - .offset:         200
        .size:           4
        .value_kind:     hidden_block_count_x
      - .offset:         204
        .size:           4
        .value_kind:     hidden_block_count_y
      - .offset:         208
        .size:           4
        .value_kind:     hidden_block_count_z
      - .offset:         212
        .size:           2
        .value_kind:     hidden_group_size_x
      - .offset:         214
        .size:           2
        .value_kind:     hidden_group_size_y
      - .offset:         216
        .size:           2
        .value_kind:     hidden_group_size_z
      - .offset:         218
        .size:           2
        .value_kind:     hidden_remainder_x
      - .offset:         220
        .size:           2
        .value_kind:     hidden_remainder_y
      - .offset:         222
        .size:           2
        .value_kind:     hidden_remainder_z
      - .offset:         240
        .size:           8
        .value_kind:     hidden_global_offset_x
      - .offset:         248
        .size:           8
        .value_kind:     hidden_global_offset_y
      - .offset:         256
        .size:           8
        .value_kind:     hidden_global_offset_z
      - .offset:         264
        .size:           2
        .value_kind:     hidden_grid_dims
    .group_segment_fixed_size: 0
    .kernarg_segment_align: 8
    .kernarg_segment_size: 456
    .language:       OpenCL C
    .language_version:
      - 2
      - 0
    .max_flat_workgroup_size: 1024
    .name:           _ZN2at6native12_GLOBAL__N_132replication_pad_forward_kernel3dIlEEvN5torch10headeronly6detail27GenericPackedTensorAccessorINS5_14TensorAccessorIN3c108ArrayRefIlEEKT_Lm4ENS4_16DefaultPtrTraitsElEENS_6detail16IndexBoundsCheckILm5ElEESC_Lm5ESD_lEENS6_INS7_ISA_SB_Lm4ESD_lEESH_SB_Lm5ESD_lEEiiiii
    .private_segment_fixed_size: 0
    .sgpr_count:     34
    .sgpr_spill_count: 0
    .symbol:         _ZN2at6native12_GLOBAL__N_132replication_pad_forward_kernel3dIlEEvN5torch10headeronly6detail27GenericPackedTensorAccessorINS5_14TensorAccessorIN3c108ArrayRefIlEEKT_Lm4ENS4_16DefaultPtrTraitsElEENS_6detail16IndexBoundsCheckILm5ElEESC_Lm5ESD_lEENS6_INS7_ISA_SB_Lm4ESD_lEESH_SB_Lm5ESD_lEEiiiii.kd
    .uniform_work_group_size: 1
    .uses_dynamic_stack: false
    .vgpr_count:     17
    .vgpr_spill_count: 0
    .wavefront_size: 32
    .workgroup_processor_mode: 1
  - .args:
      - .offset:         0
        .size:           88
        .value_kind:     by_value
      - .offset:         88
        .size:           88
        .value_kind:     by_value
      - .offset:         176
        .size:           4
        .value_kind:     by_value
      - .offset:         180
        .size:           4
        .value_kind:     by_value
      - .offset:         184
        .size:           4
        .value_kind:     by_value
      - .offset:         188
        .size:           4
        .value_kind:     by_value
      - .offset:         192
        .size:           4
        .value_kind:     by_value
      - .offset:         200
        .size:           4
        .value_kind:     hidden_block_count_x
      - .offset:         204
        .size:           4
        .value_kind:     hidden_block_count_y
      - .offset:         208
        .size:           4
        .value_kind:     hidden_block_count_z
      - .offset:         212
        .size:           2
        .value_kind:     hidden_group_size_x
      - .offset:         214
        .size:           2
        .value_kind:     hidden_group_size_y
      - .offset:         216
        .size:           2
        .value_kind:     hidden_group_size_z
      - .offset:         218
        .size:           2
        .value_kind:     hidden_remainder_x
      - .offset:         220
        .size:           2
        .value_kind:     hidden_remainder_y
      - .offset:         222
        .size:           2
        .value_kind:     hidden_remainder_z
      - .offset:         240
        .size:           8
        .value_kind:     hidden_global_offset_x
      - .offset:         248
        .size:           8
        .value_kind:     hidden_global_offset_y
      - .offset:         256
        .size:           8
        .value_kind:     hidden_global_offset_z
      - .offset:         264
        .size:           2
        .value_kind:     hidden_grid_dims
    .group_segment_fixed_size: 0
    .kernarg_segment_align: 8
    .kernarg_segment_size: 456
    .language:       OpenCL C
    .language_version:
      - 2
      - 0
    .max_flat_workgroup_size: 1024
    .name:           _ZN2at6native12_GLOBAL__N_132replication_pad_forward_kernel3dIsEEvN5torch10headeronly6detail27GenericPackedTensorAccessorINS5_14TensorAccessorIN3c108ArrayRefIlEEKT_Lm4ENS4_16DefaultPtrTraitsElEENS_6detail16IndexBoundsCheckILm5ElEESC_Lm5ESD_lEENS6_INS7_ISA_SB_Lm4ESD_lEESH_SB_Lm5ESD_lEEiiiii
    .private_segment_fixed_size: 0
    .sgpr_count:     34
    .sgpr_spill_count: 0
    .symbol:         _ZN2at6native12_GLOBAL__N_132replication_pad_forward_kernel3dIsEEvN5torch10headeronly6detail27GenericPackedTensorAccessorINS5_14TensorAccessorIN3c108ArrayRefIlEEKT_Lm4ENS4_16DefaultPtrTraitsElEENS_6detail16IndexBoundsCheckILm5ElEESC_Lm5ESD_lEENS6_INS7_ISA_SB_Lm4ESD_lEESH_SB_Lm5ESD_lEEiiiii.kd
    .uniform_work_group_size: 1
    .uses_dynamic_stack: false
    .vgpr_count:     17
    .vgpr_spill_count: 0
    .wavefront_size: 32
    .workgroup_processor_mode: 1
  - .args:
      - .offset:         0
        .size:           88
        .value_kind:     by_value
      - .offset:         88
        .size:           88
        .value_kind:     by_value
      - .offset:         176
        .size:           4
        .value_kind:     by_value
      - .offset:         180
        .size:           4
        .value_kind:     by_value
      - .offset:         184
        .size:           4
        .value_kind:     by_value
      - .offset:         188
        .size:           4
        .value_kind:     by_value
      - .offset:         192
        .size:           4
        .value_kind:     by_value
      - .offset:         200
        .size:           4
        .value_kind:     hidden_block_count_x
      - .offset:         204
        .size:           4
        .value_kind:     hidden_block_count_y
      - .offset:         208
        .size:           4
        .value_kind:     hidden_block_count_z
      - .offset:         212
        .size:           2
        .value_kind:     hidden_group_size_x
      - .offset:         214
        .size:           2
        .value_kind:     hidden_group_size_y
      - .offset:         216
        .size:           2
        .value_kind:     hidden_group_size_z
      - .offset:         218
        .size:           2
        .value_kind:     hidden_remainder_x
      - .offset:         220
        .size:           2
        .value_kind:     hidden_remainder_y
      - .offset:         222
        .size:           2
        .value_kind:     hidden_remainder_z
      - .offset:         240
        .size:           8
        .value_kind:     hidden_global_offset_x
      - .offset:         248
        .size:           8
        .value_kind:     hidden_global_offset_y
      - .offset:         256
        .size:           8
        .value_kind:     hidden_global_offset_z
      - .offset:         264
        .size:           2
        .value_kind:     hidden_grid_dims
    .group_segment_fixed_size: 0
    .kernarg_segment_align: 8
    .kernarg_segment_size: 456
    .language:       OpenCL C
    .language_version:
      - 2
      - 0
    .max_flat_workgroup_size: 1024
    .name:           _ZN2at6native12_GLOBAL__N_132replication_pad_forward_kernel3dIdEEvN5torch10headeronly6detail27GenericPackedTensorAccessorINS5_14TensorAccessorIN3c108ArrayRefIlEEKT_Lm4ENS4_16DefaultPtrTraitsElEENS_6detail16IndexBoundsCheckILm5ElEESC_Lm5ESD_lEENS6_INS7_ISA_SB_Lm4ESD_lEESH_SB_Lm5ESD_lEEiiiii
    .private_segment_fixed_size: 0
    .sgpr_count:     34
    .sgpr_spill_count: 0
    .symbol:         _ZN2at6native12_GLOBAL__N_132replication_pad_forward_kernel3dIdEEvN5torch10headeronly6detail27GenericPackedTensorAccessorINS5_14TensorAccessorIN3c108ArrayRefIlEEKT_Lm4ENS4_16DefaultPtrTraitsElEENS_6detail16IndexBoundsCheckILm5ElEESC_Lm5ESD_lEENS6_INS7_ISA_SB_Lm4ESD_lEESH_SB_Lm5ESD_lEEiiiii.kd
    .uniform_work_group_size: 1
    .uses_dynamic_stack: false
    .vgpr_count:     17
    .vgpr_spill_count: 0
    .wavefront_size: 32
    .workgroup_processor_mode: 1
  - .args:
      - .offset:         0
        .size:           88
        .value_kind:     by_value
      - .offset:         88
        .size:           88
        .value_kind:     by_value
      - .offset:         176
        .size:           4
        .value_kind:     by_value
      - .offset:         180
        .size:           4
        .value_kind:     by_value
      - .offset:         184
        .size:           4
        .value_kind:     by_value
      - .offset:         188
        .size:           4
        .value_kind:     by_value
      - .offset:         192
        .size:           4
        .value_kind:     by_value
      - .offset:         200
        .size:           4
        .value_kind:     hidden_block_count_x
      - .offset:         204
        .size:           4
        .value_kind:     hidden_block_count_y
      - .offset:         208
        .size:           4
        .value_kind:     hidden_block_count_z
      - .offset:         212
        .size:           2
        .value_kind:     hidden_group_size_x
      - .offset:         214
        .size:           2
        .value_kind:     hidden_group_size_y
      - .offset:         216
        .size:           2
        .value_kind:     hidden_group_size_z
      - .offset:         218
        .size:           2
        .value_kind:     hidden_remainder_x
      - .offset:         220
        .size:           2
        .value_kind:     hidden_remainder_y
      - .offset:         222
        .size:           2
        .value_kind:     hidden_remainder_z
      - .offset:         240
        .size:           8
        .value_kind:     hidden_global_offset_x
      - .offset:         248
        .size:           8
        .value_kind:     hidden_global_offset_y
      - .offset:         256
        .size:           8
        .value_kind:     hidden_global_offset_z
      - .offset:         264
        .size:           2
        .value_kind:     hidden_grid_dims
    .group_segment_fixed_size: 0
    .kernarg_segment_align: 8
    .kernarg_segment_size: 456
    .language:       OpenCL C
    .language_version:
      - 2
      - 0
    .max_flat_workgroup_size: 1024
    .name:           _ZN2at6native12_GLOBAL__N_132replication_pad_forward_kernel3dIfEEvN5torch10headeronly6detail27GenericPackedTensorAccessorINS5_14TensorAccessorIN3c108ArrayRefIlEEKT_Lm4ENS4_16DefaultPtrTraitsElEENS_6detail16IndexBoundsCheckILm5ElEESC_Lm5ESD_lEENS6_INS7_ISA_SB_Lm4ESD_lEESH_SB_Lm5ESD_lEEiiiii
    .private_segment_fixed_size: 0
    .sgpr_count:     34
    .sgpr_spill_count: 0
    .symbol:         _ZN2at6native12_GLOBAL__N_132replication_pad_forward_kernel3dIfEEvN5torch10headeronly6detail27GenericPackedTensorAccessorINS5_14TensorAccessorIN3c108ArrayRefIlEEKT_Lm4ENS4_16DefaultPtrTraitsElEENS_6detail16IndexBoundsCheckILm5ElEESC_Lm5ESD_lEENS6_INS7_ISA_SB_Lm4ESD_lEESH_SB_Lm5ESD_lEEiiiii.kd
    .uniform_work_group_size: 1
    .uses_dynamic_stack: false
    .vgpr_count:     17
    .vgpr_spill_count: 0
    .wavefront_size: 32
    .workgroup_processor_mode: 1
  - .args:
      - .offset:         0
        .size:           88
        .value_kind:     by_value
      - .offset:         88
        .size:           88
        .value_kind:     by_value
      - .offset:         176
        .size:           4
        .value_kind:     by_value
      - .offset:         180
        .size:           4
        .value_kind:     by_value
      - .offset:         184
        .size:           4
        .value_kind:     by_value
      - .offset:         188
        .size:           4
        .value_kind:     by_value
      - .offset:         192
        .size:           4
        .value_kind:     by_value
      - .offset:         200
        .size:           4
        .value_kind:     hidden_block_count_x
      - .offset:         204
        .size:           4
        .value_kind:     hidden_block_count_y
      - .offset:         208
        .size:           4
        .value_kind:     hidden_block_count_z
      - .offset:         212
        .size:           2
        .value_kind:     hidden_group_size_x
      - .offset:         214
        .size:           2
        .value_kind:     hidden_group_size_y
      - .offset:         216
        .size:           2
        .value_kind:     hidden_group_size_z
      - .offset:         218
        .size:           2
        .value_kind:     hidden_remainder_x
      - .offset:         220
        .size:           2
        .value_kind:     hidden_remainder_y
      - .offset:         222
        .size:           2
        .value_kind:     hidden_remainder_z
      - .offset:         240
        .size:           8
        .value_kind:     hidden_global_offset_x
      - .offset:         248
        .size:           8
        .value_kind:     hidden_global_offset_y
      - .offset:         256
        .size:           8
        .value_kind:     hidden_global_offset_z
      - .offset:         264
        .size:           2
        .value_kind:     hidden_grid_dims
    .group_segment_fixed_size: 0
    .kernarg_segment_align: 8
    .kernarg_segment_size: 456
    .language:       OpenCL C
    .language_version:
      - 2
      - 0
    .max_flat_workgroup_size: 1024
    .name:           _ZN2at6native12_GLOBAL__N_132replication_pad_forward_kernel3dIN3c107complexIdEEEEvN5torch10headeronly6detail27GenericPackedTensorAccessorINS8_14TensorAccessorINS3_8ArrayRefIlEEKT_Lm4ENS7_16DefaultPtrTraitsElEENS_6detail16IndexBoundsCheckILm5ElEESE_Lm5ESF_lEENS9_INSA_ISC_SD_Lm4ESF_lEESJ_SD_Lm5ESF_lEEiiiii
    .private_segment_fixed_size: 0
    .sgpr_count:     34
    .sgpr_spill_count: 0
    .symbol:         _ZN2at6native12_GLOBAL__N_132replication_pad_forward_kernel3dIN3c107complexIdEEEEvN5torch10headeronly6detail27GenericPackedTensorAccessorINS8_14TensorAccessorINS3_8ArrayRefIlEEKT_Lm4ENS7_16DefaultPtrTraitsElEENS_6detail16IndexBoundsCheckILm5ElEESE_Lm5ESF_lEENS9_INSA_ISC_SD_Lm4ESF_lEESJ_SD_Lm5ESF_lEEiiiii.kd
    .uniform_work_group_size: 1
    .uses_dynamic_stack: false
    .vgpr_count:     17
    .vgpr_spill_count: 0
    .wavefront_size: 32
    .workgroup_processor_mode: 1
  - .args:
      - .offset:         0
        .size:           88
        .value_kind:     by_value
      - .offset:         88
        .size:           88
        .value_kind:     by_value
      - .offset:         176
        .size:           4
        .value_kind:     by_value
      - .offset:         180
        .size:           4
        .value_kind:     by_value
      - .offset:         184
        .size:           4
        .value_kind:     by_value
      - .offset:         188
        .size:           4
        .value_kind:     by_value
      - .offset:         192
        .size:           4
        .value_kind:     by_value
      - .offset:         200
        .size:           4
        .value_kind:     hidden_block_count_x
      - .offset:         204
        .size:           4
        .value_kind:     hidden_block_count_y
      - .offset:         208
        .size:           4
        .value_kind:     hidden_block_count_z
      - .offset:         212
        .size:           2
        .value_kind:     hidden_group_size_x
      - .offset:         214
        .size:           2
        .value_kind:     hidden_group_size_y
      - .offset:         216
        .size:           2
        .value_kind:     hidden_group_size_z
      - .offset:         218
        .size:           2
        .value_kind:     hidden_remainder_x
      - .offset:         220
        .size:           2
        .value_kind:     hidden_remainder_y
      - .offset:         222
        .size:           2
        .value_kind:     hidden_remainder_z
      - .offset:         240
        .size:           8
        .value_kind:     hidden_global_offset_x
      - .offset:         248
        .size:           8
        .value_kind:     hidden_global_offset_y
      - .offset:         256
        .size:           8
        .value_kind:     hidden_global_offset_z
      - .offset:         264
        .size:           2
        .value_kind:     hidden_grid_dims
    .group_segment_fixed_size: 0
    .kernarg_segment_align: 8
    .kernarg_segment_size: 456
    .language:       OpenCL C
    .language_version:
      - 2
      - 0
    .max_flat_workgroup_size: 1024
    .name:           _ZN2at6native12_GLOBAL__N_132replication_pad_forward_kernel3dIN3c107complexIfEEEEvN5torch10headeronly6detail27GenericPackedTensorAccessorINS8_14TensorAccessorINS3_8ArrayRefIlEEKT_Lm4ENS7_16DefaultPtrTraitsElEENS_6detail16IndexBoundsCheckILm5ElEESE_Lm5ESF_lEENS9_INSA_ISC_SD_Lm4ESF_lEESJ_SD_Lm5ESF_lEEiiiii
    .private_segment_fixed_size: 0
    .sgpr_count:     34
    .sgpr_spill_count: 0
    .symbol:         _ZN2at6native12_GLOBAL__N_132replication_pad_forward_kernel3dIN3c107complexIfEEEEvN5torch10headeronly6detail27GenericPackedTensorAccessorINS8_14TensorAccessorINS3_8ArrayRefIlEEKT_Lm4ENS7_16DefaultPtrTraitsElEENS_6detail16IndexBoundsCheckILm5ElEESE_Lm5ESF_lEENS9_INSA_ISC_SD_Lm4ESF_lEESJ_SD_Lm5ESF_lEEiiiii.kd
    .uniform_work_group_size: 1
    .uses_dynamic_stack: false
    .vgpr_count:     17
    .vgpr_spill_count: 0
    .wavefront_size: 32
    .workgroup_processor_mode: 1
  - .args:
      - .offset:         0
        .size:           88
        .value_kind:     by_value
      - .offset:         88
        .size:           88
        .value_kind:     by_value
      - .offset:         176
        .size:           4
        .value_kind:     by_value
      - .offset:         180
        .size:           4
        .value_kind:     by_value
      - .offset:         184
        .size:           4
        .value_kind:     by_value
      - .offset:         188
        .size:           4
        .value_kind:     by_value
      - .offset:         192
        .size:           4
        .value_kind:     by_value
      - .offset:         200
        .size:           4
        .value_kind:     hidden_block_count_x
      - .offset:         204
        .size:           4
        .value_kind:     hidden_block_count_y
      - .offset:         208
        .size:           4
        .value_kind:     hidden_block_count_z
      - .offset:         212
        .size:           2
        .value_kind:     hidden_group_size_x
      - .offset:         214
        .size:           2
        .value_kind:     hidden_group_size_y
      - .offset:         216
        .size:           2
        .value_kind:     hidden_group_size_z
      - .offset:         218
        .size:           2
        .value_kind:     hidden_remainder_x
      - .offset:         220
        .size:           2
        .value_kind:     hidden_remainder_y
      - .offset:         222
        .size:           2
        .value_kind:     hidden_remainder_z
      - .offset:         240
        .size:           8
        .value_kind:     hidden_global_offset_x
      - .offset:         248
        .size:           8
        .value_kind:     hidden_global_offset_y
      - .offset:         256
        .size:           8
        .value_kind:     hidden_global_offset_z
      - .offset:         264
        .size:           2
        .value_kind:     hidden_grid_dims
    .group_segment_fixed_size: 0
    .kernarg_segment_align: 8
    .kernarg_segment_size: 456
    .language:       OpenCL C
    .language_version:
      - 2
      - 0
    .max_flat_workgroup_size: 1024
    .name:           _ZN2at6native12_GLOBAL__N_132replication_pad_forward_kernel3dIN3c104HalfEEEvN5torch10headeronly6detail27GenericPackedTensorAccessorINS7_14TensorAccessorINS3_8ArrayRefIlEEKT_Lm4ENS6_16DefaultPtrTraitsElEENS_6detail16IndexBoundsCheckILm5ElEESD_Lm5ESE_lEENS8_INS9_ISB_SC_Lm4ESE_lEESI_SC_Lm5ESE_lEEiiiii
    .private_segment_fixed_size: 0
    .sgpr_count:     34
    .sgpr_spill_count: 0
    .symbol:         _ZN2at6native12_GLOBAL__N_132replication_pad_forward_kernel3dIN3c104HalfEEEvN5torch10headeronly6detail27GenericPackedTensorAccessorINS7_14TensorAccessorINS3_8ArrayRefIlEEKT_Lm4ENS6_16DefaultPtrTraitsElEENS_6detail16IndexBoundsCheckILm5ElEESD_Lm5ESE_lEENS8_INS9_ISB_SC_Lm4ESE_lEESI_SC_Lm5ESE_lEEiiiii.kd
    .uniform_work_group_size: 1
    .uses_dynamic_stack: false
    .vgpr_count:     17
    .vgpr_spill_count: 0
    .wavefront_size: 32
    .workgroup_processor_mode: 1
  - .args:
      - .offset:         0
        .size:           88
        .value_kind:     by_value
      - .offset:         88
        .size:           88
        .value_kind:     by_value
      - .offset:         176
        .size:           4
        .value_kind:     by_value
      - .offset:         180
        .size:           4
        .value_kind:     by_value
      - .offset:         184
        .size:           4
        .value_kind:     by_value
      - .offset:         188
        .size:           4
        .value_kind:     by_value
      - .offset:         192
        .size:           4
        .value_kind:     by_value
      - .offset:         200
        .size:           4
        .value_kind:     hidden_block_count_x
      - .offset:         204
        .size:           4
        .value_kind:     hidden_block_count_y
      - .offset:         208
        .size:           4
        .value_kind:     hidden_block_count_z
      - .offset:         212
        .size:           2
        .value_kind:     hidden_group_size_x
      - .offset:         214
        .size:           2
        .value_kind:     hidden_group_size_y
      - .offset:         216
        .size:           2
        .value_kind:     hidden_group_size_z
      - .offset:         218
        .size:           2
        .value_kind:     hidden_remainder_x
      - .offset:         220
        .size:           2
        .value_kind:     hidden_remainder_y
      - .offset:         222
        .size:           2
        .value_kind:     hidden_remainder_z
      - .offset:         240
        .size:           8
        .value_kind:     hidden_global_offset_x
      - .offset:         248
        .size:           8
        .value_kind:     hidden_global_offset_y
      - .offset:         256
        .size:           8
        .value_kind:     hidden_global_offset_z
      - .offset:         264
        .size:           2
        .value_kind:     hidden_grid_dims
    .group_segment_fixed_size: 0
    .kernarg_segment_align: 8
    .kernarg_segment_size: 456
    .language:       OpenCL C
    .language_version:
      - 2
      - 0
    .max_flat_workgroup_size: 1024
    .name:           _ZN2at6native12_GLOBAL__N_132replication_pad_forward_kernel3dIN3c108BFloat16EEEvN5torch10headeronly6detail27GenericPackedTensorAccessorINS7_14TensorAccessorINS3_8ArrayRefIlEEKT_Lm4ENS6_16DefaultPtrTraitsElEENS_6detail16IndexBoundsCheckILm5ElEESD_Lm5ESE_lEENS8_INS9_ISB_SC_Lm4ESE_lEESI_SC_Lm5ESE_lEEiiiii
    .private_segment_fixed_size: 0
    .sgpr_count:     34
    .sgpr_spill_count: 0
    .symbol:         _ZN2at6native12_GLOBAL__N_132replication_pad_forward_kernel3dIN3c108BFloat16EEEvN5torch10headeronly6detail27GenericPackedTensorAccessorINS7_14TensorAccessorINS3_8ArrayRefIlEEKT_Lm4ENS6_16DefaultPtrTraitsElEENS_6detail16IndexBoundsCheckILm5ElEESD_Lm5ESE_lEENS8_INS9_ISB_SC_Lm4ESE_lEESI_SC_Lm5ESE_lEEiiiii.kd
    .uniform_work_group_size: 1
    .uses_dynamic_stack: false
    .vgpr_count:     17
    .vgpr_spill_count: 0
    .wavefront_size: 32
    .workgroup_processor_mode: 1
amdhsa.target:   amdgcn-amd-amdhsa--gfx1100
amdhsa.version:
  - 1
  - 2
...

	.end_amdgpu_metadata
